;; amdgpu-corpus repo=ROCm/rocFFT kind=compiled arch=gfx906 opt=O3
	.text
	.amdgcn_target "amdgcn-amd-amdhsa--gfx906"
	.amdhsa_code_object_version 6
	.protected	fft_rtc_fwd_len3600_factors_10_10_6_6_wgs_120_tpt_120_halfLds_half_op_CI_CI_unitstride_sbrr_C2R_dirReg ; -- Begin function fft_rtc_fwd_len3600_factors_10_10_6_6_wgs_120_tpt_120_halfLds_half_op_CI_CI_unitstride_sbrr_C2R_dirReg
	.globl	fft_rtc_fwd_len3600_factors_10_10_6_6_wgs_120_tpt_120_halfLds_half_op_CI_CI_unitstride_sbrr_C2R_dirReg
	.p2align	8
	.type	fft_rtc_fwd_len3600_factors_10_10_6_6_wgs_120_tpt_120_halfLds_half_op_CI_CI_unitstride_sbrr_C2R_dirReg,@function
fft_rtc_fwd_len3600_factors_10_10_6_6_wgs_120_tpt_120_halfLds_half_op_CI_CI_unitstride_sbrr_C2R_dirReg: ; @fft_rtc_fwd_len3600_factors_10_10_6_6_wgs_120_tpt_120_halfLds_half_op_CI_CI_unitstride_sbrr_C2R_dirReg
; %bb.0:
	s_load_dwordx4 s[8:11], s[4:5], 0x58
	s_load_dwordx4 s[12:15], s[4:5], 0x0
	;; [unrolled: 1-line block ×3, first 2 shown]
	v_mul_u32_u24_e32 v1, 0x223, v0
	v_add_u32_sdwa v5, s6, v1 dst_sel:DWORD dst_unused:UNUSED_PAD src0_sel:DWORD src1_sel:WORD_1
	v_mov_b32_e32 v3, 0
	s_waitcnt lgkmcnt(0)
	v_cmp_lt_u64_e64 s[0:1], s[14:15], 2
	v_mov_b32_e32 v1, 0
	v_mov_b32_e32 v6, v3
	s_and_b64 vcc, exec, s[0:1]
	v_mov_b32_e32 v2, 0
	s_cbranch_vccnz .LBB0_8
; %bb.1:
	s_load_dwordx2 s[0:1], s[4:5], 0x10
	s_add_u32 s2, s18, 8
	s_addc_u32 s3, s19, 0
	s_add_u32 s6, s16, 8
	v_mov_b32_e32 v1, 0
	s_addc_u32 s7, s17, 0
	v_mov_b32_e32 v2, 0
	s_waitcnt lgkmcnt(0)
	s_add_u32 s20, s0, 8
	v_mov_b32_e32 v13, v2
	s_addc_u32 s21, s1, 0
	s_mov_b64 s[22:23], 1
	v_mov_b32_e32 v12, v1
.LBB0_2:                                ; =>This Inner Loop Header: Depth=1
	s_load_dwordx2 s[24:25], s[20:21], 0x0
                                        ; implicit-def: $vgpr16_vgpr17
	s_waitcnt lgkmcnt(0)
	v_or_b32_e32 v4, s25, v6
	v_cmp_ne_u64_e32 vcc, 0, v[3:4]
	s_and_saveexec_b64 s[0:1], vcc
	s_xor_b64 s[26:27], exec, s[0:1]
	s_cbranch_execz .LBB0_4
; %bb.3:                                ;   in Loop: Header=BB0_2 Depth=1
	v_cvt_f32_u32_e32 v4, s24
	v_cvt_f32_u32_e32 v7, s25
	s_sub_u32 s0, 0, s24
	s_subb_u32 s1, 0, s25
	v_mac_f32_e32 v4, 0x4f800000, v7
	v_rcp_f32_e32 v4, v4
	v_mul_f32_e32 v4, 0x5f7ffffc, v4
	v_mul_f32_e32 v7, 0x2f800000, v4
	v_trunc_f32_e32 v7, v7
	v_mac_f32_e32 v4, 0xcf800000, v7
	v_cvt_u32_f32_e32 v7, v7
	v_cvt_u32_f32_e32 v4, v4
	v_mul_lo_u32 v8, s0, v7
	v_mul_hi_u32 v9, s0, v4
	v_mul_lo_u32 v11, s1, v4
	v_mul_lo_u32 v10, s0, v4
	v_add_u32_e32 v8, v9, v8
	v_add_u32_e32 v8, v8, v11
	v_mul_hi_u32 v9, v4, v10
	v_mul_lo_u32 v11, v4, v8
	v_mul_hi_u32 v15, v4, v8
	v_mul_hi_u32 v14, v7, v10
	v_mul_lo_u32 v10, v7, v10
	v_mul_hi_u32 v16, v7, v8
	v_add_co_u32_e32 v9, vcc, v9, v11
	v_addc_co_u32_e32 v11, vcc, 0, v15, vcc
	v_mul_lo_u32 v8, v7, v8
	v_add_co_u32_e32 v9, vcc, v9, v10
	v_addc_co_u32_e32 v9, vcc, v11, v14, vcc
	v_addc_co_u32_e32 v10, vcc, 0, v16, vcc
	v_add_co_u32_e32 v8, vcc, v9, v8
	v_addc_co_u32_e32 v9, vcc, 0, v10, vcc
	v_add_co_u32_e32 v4, vcc, v4, v8
	v_addc_co_u32_e32 v7, vcc, v7, v9, vcc
	v_mul_lo_u32 v8, s0, v7
	v_mul_hi_u32 v9, s0, v4
	v_mul_lo_u32 v10, s1, v4
	v_mul_lo_u32 v11, s0, v4
	v_add_u32_e32 v8, v9, v8
	v_add_u32_e32 v8, v8, v10
	v_mul_lo_u32 v14, v4, v8
	v_mul_hi_u32 v15, v4, v11
	v_mul_hi_u32 v16, v4, v8
	v_mul_hi_u32 v10, v7, v11
	v_mul_lo_u32 v11, v7, v11
	v_mul_hi_u32 v9, v7, v8
	v_add_co_u32_e32 v14, vcc, v15, v14
	v_addc_co_u32_e32 v15, vcc, 0, v16, vcc
	v_mul_lo_u32 v8, v7, v8
	v_add_co_u32_e32 v11, vcc, v14, v11
	v_addc_co_u32_e32 v10, vcc, v15, v10, vcc
	v_addc_co_u32_e32 v9, vcc, 0, v9, vcc
	v_add_co_u32_e32 v8, vcc, v10, v8
	v_addc_co_u32_e32 v9, vcc, 0, v9, vcc
	v_add_co_u32_e32 v4, vcc, v4, v8
	v_addc_co_u32_e32 v9, vcc, v7, v9, vcc
	v_mad_u64_u32 v[7:8], s[0:1], v5, v9, 0
	v_mul_hi_u32 v10, v5, v4
	v_add_co_u32_e32 v11, vcc, v10, v7
	v_addc_co_u32_e32 v14, vcc, 0, v8, vcc
	v_mad_u64_u32 v[7:8], s[0:1], v6, v4, 0
	v_mad_u64_u32 v[9:10], s[0:1], v6, v9, 0
	v_add_co_u32_e32 v4, vcc, v11, v7
	v_addc_co_u32_e32 v4, vcc, v14, v8, vcc
	v_addc_co_u32_e32 v7, vcc, 0, v10, vcc
	v_add_co_u32_e32 v4, vcc, v4, v9
	v_addc_co_u32_e32 v9, vcc, 0, v7, vcc
	v_mul_lo_u32 v10, s25, v4
	v_mul_lo_u32 v11, s24, v9
	v_mad_u64_u32 v[7:8], s[0:1], s24, v4, 0
	v_add3_u32 v8, v8, v11, v10
	v_sub_u32_e32 v10, v6, v8
	v_mov_b32_e32 v11, s25
	v_sub_co_u32_e32 v7, vcc, v5, v7
	v_subb_co_u32_e64 v10, s[0:1], v10, v11, vcc
	v_subrev_co_u32_e64 v11, s[0:1], s24, v7
	v_subbrev_co_u32_e64 v10, s[0:1], 0, v10, s[0:1]
	v_cmp_le_u32_e64 s[0:1], s25, v10
	v_cndmask_b32_e64 v14, 0, -1, s[0:1]
	v_cmp_le_u32_e64 s[0:1], s24, v11
	v_cndmask_b32_e64 v11, 0, -1, s[0:1]
	v_cmp_eq_u32_e64 s[0:1], s25, v10
	v_cndmask_b32_e64 v10, v14, v11, s[0:1]
	v_add_co_u32_e64 v11, s[0:1], 2, v4
	v_addc_co_u32_e64 v14, s[0:1], 0, v9, s[0:1]
	v_add_co_u32_e64 v15, s[0:1], 1, v4
	v_addc_co_u32_e64 v16, s[0:1], 0, v9, s[0:1]
	v_subb_co_u32_e32 v8, vcc, v6, v8, vcc
	v_cmp_ne_u32_e64 s[0:1], 0, v10
	v_cmp_le_u32_e32 vcc, s25, v8
	v_cndmask_b32_e64 v10, v16, v14, s[0:1]
	v_cndmask_b32_e64 v14, 0, -1, vcc
	v_cmp_le_u32_e32 vcc, s24, v7
	v_cndmask_b32_e64 v7, 0, -1, vcc
	v_cmp_eq_u32_e32 vcc, s25, v8
	v_cndmask_b32_e32 v7, v14, v7, vcc
	v_cmp_ne_u32_e32 vcc, 0, v7
	v_cndmask_b32_e64 v7, v15, v11, s[0:1]
	v_cndmask_b32_e32 v17, v9, v10, vcc
	v_cndmask_b32_e32 v16, v4, v7, vcc
.LBB0_4:                                ;   in Loop: Header=BB0_2 Depth=1
	s_andn2_saveexec_b64 s[0:1], s[26:27]
	s_cbranch_execz .LBB0_6
; %bb.5:                                ;   in Loop: Header=BB0_2 Depth=1
	v_cvt_f32_u32_e32 v4, s24
	s_sub_i32 s26, 0, s24
	v_mov_b32_e32 v17, v3
	v_rcp_iflag_f32_e32 v4, v4
	v_mul_f32_e32 v4, 0x4f7ffffe, v4
	v_cvt_u32_f32_e32 v4, v4
	v_mul_lo_u32 v7, s26, v4
	v_mul_hi_u32 v7, v4, v7
	v_add_u32_e32 v4, v4, v7
	v_mul_hi_u32 v4, v5, v4
	v_mul_lo_u32 v7, v4, s24
	v_add_u32_e32 v8, 1, v4
	v_sub_u32_e32 v7, v5, v7
	v_subrev_u32_e32 v9, s24, v7
	v_cmp_le_u32_e32 vcc, s24, v7
	v_cndmask_b32_e32 v7, v7, v9, vcc
	v_cndmask_b32_e32 v4, v4, v8, vcc
	v_add_u32_e32 v8, 1, v4
	v_cmp_le_u32_e32 vcc, s24, v7
	v_cndmask_b32_e32 v16, v4, v8, vcc
.LBB0_6:                                ;   in Loop: Header=BB0_2 Depth=1
	s_or_b64 exec, exec, s[0:1]
	v_mul_lo_u32 v4, v17, s24
	v_mul_lo_u32 v9, v16, s25
	v_mad_u64_u32 v[7:8], s[0:1], v16, s24, 0
	s_load_dwordx2 s[0:1], s[6:7], 0x0
	s_load_dwordx2 s[24:25], s[2:3], 0x0
	v_add3_u32 v4, v8, v9, v4
	v_sub_co_u32_e32 v5, vcc, v5, v7
	v_subb_co_u32_e32 v4, vcc, v6, v4, vcc
	s_waitcnt lgkmcnt(0)
	v_mul_lo_u32 v6, s0, v4
	v_mul_lo_u32 v7, s1, v5
	v_mad_u64_u32 v[1:2], s[0:1], s0, v5, v[1:2]
	v_mul_lo_u32 v4, s24, v4
	v_mul_lo_u32 v8, s25, v5
	v_mad_u64_u32 v[12:13], s[0:1], s24, v5, v[12:13]
	s_add_u32 s22, s22, 1
	s_addc_u32 s23, s23, 0
	s_add_u32 s2, s2, 8
	v_add3_u32 v13, v8, v13, v4
	s_addc_u32 s3, s3, 0
	v_mov_b32_e32 v4, s14
	s_add_u32 s6, s6, 8
	v_mov_b32_e32 v5, s15
	s_addc_u32 s7, s7, 0
	v_cmp_ge_u64_e32 vcc, s[22:23], v[4:5]
	s_add_u32 s20, s20, 8
	v_add3_u32 v2, v7, v2, v6
	s_addc_u32 s21, s21, 0
	s_cbranch_vccnz .LBB0_9
; %bb.7:                                ;   in Loop: Header=BB0_2 Depth=1
	v_mov_b32_e32 v5, v16
	v_mov_b32_e32 v6, v17
	s_branch .LBB0_2
.LBB0_8:
	v_mov_b32_e32 v13, v2
	v_mov_b32_e32 v17, v6
	;; [unrolled: 1-line block ×4, first 2 shown]
.LBB0_9:
	s_load_dwordx2 s[4:5], s[4:5], 0x28
	s_lshl_b64 s[6:7], s[14:15], 3
	s_add_u32 s2, s18, s6
	s_addc_u32 s3, s19, s7
                                        ; implicit-def: $vgpr14
	s_waitcnt lgkmcnt(0)
	v_cmp_gt_u64_e64 s[0:1], s[4:5], v[16:17]
	v_cmp_le_u64_e32 vcc, s[4:5], v[16:17]
	s_and_saveexec_b64 s[4:5], vcc
	s_xor_b64 s[4:5], exec, s[4:5]
; %bb.10:
	s_mov_b32 s14, 0x2222223
	v_mul_hi_u32 v1, v0, s14
	v_mul_u32_u24_e32 v1, 0x78, v1
	v_sub_u32_e32 v14, v0, v1
                                        ; implicit-def: $vgpr0
                                        ; implicit-def: $vgpr1_vgpr2
; %bb.11:
	s_or_saveexec_b64 s[4:5], s[4:5]
	s_load_dwordx2 s[2:3], s[2:3], 0x0
	s_xor_b64 exec, exec, s[4:5]
	s_cbranch_execz .LBB0_15
; %bb.12:
	s_add_u32 s6, s16, s6
	s_addc_u32 s7, s17, s7
	s_load_dwordx2 s[6:7], s[6:7], 0x0
	s_mov_b32 s14, 0x2222223
	v_mul_hi_u32 v5, v0, s14
	v_lshlrev_b64 v[1:2], 2, v[1:2]
	s_waitcnt lgkmcnt(0)
	v_mul_lo_u32 v6, s7, v16
	v_mul_lo_u32 v7, s6, v17
	v_mad_u64_u32 v[3:4], s[6:7], s6, v16, 0
	v_mul_u32_u24_e32 v5, 0x78, v5
	v_sub_u32_e32 v14, v0, v5
	v_add3_u32 v4, v4, v7, v6
	v_lshlrev_b64 v[3:4], 2, v[3:4]
	v_mov_b32_e32 v0, s9
	v_add_co_u32_e32 v3, vcc, s8, v3
	v_addc_co_u32_e32 v0, vcc, v0, v4, vcc
	v_add_co_u32_e32 v1, vcc, v3, v1
	v_addc_co_u32_e32 v0, vcc, v0, v2, vcc
	v_lshlrev_b32_e32 v10, 2, v14
	v_add_co_u32_e32 v2, vcc, v1, v10
	v_addc_co_u32_e32 v3, vcc, 0, v0, vcc
	s_movk_i32 s6, 0x1000
	v_add_co_u32_e32 v4, vcc, s6, v2
	v_addc_co_u32_e32 v5, vcc, 0, v3, vcc
	v_or_b32_e32 v6, 0x1e00, v10
	v_add_co_u32_e32 v6, vcc, v1, v6
	s_movk_i32 s6, 0x2000
	v_addc_co_u32_e32 v7, vcc, 0, v0, vcc
	v_add_co_u32_e32 v8, vcc, s6, v2
	global_load_dword v11, v[2:3], off offset:1440
	global_load_dword v15, v[2:3], off offset:1920
	global_load_dword v18, v[2:3], off offset:2400
	global_load_dword v19, v[2:3], off offset:2880
	global_load_dword v20, v[2:3], off offset:3360
	global_load_dword v21, v[2:3], off
	global_load_dword v22, v[2:3], off offset:960
	global_load_dword v23, v[2:3], off offset:480
	v_addc_co_u32_e32 v9, vcc, 0, v3, vcc
	global_load_dword v24, v[2:3], off offset:3840
	global_load_dword v25, v[4:5], off offset:224
	;; [unrolled: 1-line block ×14, first 2 shown]
	global_load_dword v38, v[6:7], off
                                        ; kill: killed $vgpr6 killed $vgpr7
	s_nop 0
	global_load_dword v4, v[4:5], off offset:4064
	v_add_co_u32_e32 v2, vcc, 0x3000, v2
	v_addc_co_u32_e32 v3, vcc, 0, v3, vcc
	global_load_dword v5, v[8:9], off offset:3328
	global_load_dword v6, v[8:9], off offset:3808
	global_load_dword v7, v[2:3], off offset:192
	global_load_dword v39, v[2:3], off offset:672
	global_load_dword v40, v[2:3], off offset:1152
	global_load_dword v41, v[2:3], off offset:1632
	v_add_u32_e32 v2, 0, v10
	v_add_u32_e32 v3, 0x200, v2
	;; [unrolled: 1-line block ×11, first 2 shown]
	s_movk_i32 s6, 0x77
	v_cmp_eq_u32_e32 vcc, s6, v14
	s_waitcnt vmcnt(23)
	ds_write2_b32 v3, v22, v11 offset0:112 offset1:232
	ds_write2_b32 v8, v15, v18 offset0:96 offset1:216
	;; [unrolled: 1-line block ×3, first 2 shown]
	s_waitcnt vmcnt(22)
	ds_write2_b32 v2, v21, v23 offset1:120
	s_waitcnt vmcnt(20)
	ds_write2_b32 v10, v24, v25 offset0:64 offset1:184
	s_waitcnt vmcnt(18)
	ds_write2_b32 v42, v26, v27 offset0:48 offset1:168
	;; [unrolled: 2-line block ×5, first 2 shown]
	ds_write2_b32 v46, v32, v33 offset0:112 offset1:232
	ds_write2_b32 v47, v34, v35 offset0:96 offset1:216
	v_add_u32_e32 v3, 0x2800, v2
	ds_write2_b32 v3, v36, v37 offset0:80 offset1:200
	v_add_u32_e32 v3, 0x2c00, v2
	s_waitcnt vmcnt(4)
	ds_write2_b32 v3, v5, v6 offset0:64 offset1:184
	v_add_u32_e32 v3, 0x3000, v2
	v_add_u32_e32 v2, 0x3400, v2
	s_waitcnt vmcnt(2)
	ds_write2_b32 v3, v7, v39 offset0:48 offset1:168
	s_waitcnt vmcnt(0)
	ds_write2_b32 v2, v40, v41 offset0:32 offset1:152
	s_and_saveexec_b64 s[6:7], vcc
	s_cbranch_execz .LBB0_14
; %bb.13:
	v_add_co_u32_e32 v1, vcc, 0x3000, v1
	v_addc_co_u32_e32 v2, vcc, 0, v0, vcc
	global_load_dword v0, v[1:2], off offset:2112
	v_mov_b32_e32 v1, 0
	v_mov_b32_e32 v14, 0x77
	s_waitcnt vmcnt(0)
	ds_write_b32 v1, v0 offset:14400
.LBB0_14:
	s_or_b64 exec, exec, s[6:7]
.LBB0_15:
	s_or_b64 exec, exec, s[4:5]
	v_lshlrev_b32_e32 v0, 2, v14
	v_add_u32_e32 v22, 0, v0
	s_waitcnt lgkmcnt(0)
	s_barrier
	v_sub_u32_e32 v2, 0, v0
	ds_read_u16 v5, v22
	ds_read_u16 v6, v2 offset:14400
	s_add_u32 s6, s12, 0x3818
	s_addc_u32 s7, s13, 0
	v_cmp_ne_u32_e32 vcc, 0, v14
                                        ; implicit-def: $vgpr0_vgpr1
	s_waitcnt lgkmcnt(0)
	v_add_f16_e32 v3, v6, v5
	v_sub_f16_e32 v4, v5, v6
	s_and_saveexec_b64 s[4:5], vcc
	s_xor_b64 s[4:5], exec, s[4:5]
	s_cbranch_execz .LBB0_17
; %bb.16:
	v_mov_b32_e32 v15, 0
	v_lshlrev_b64 v[0:1], 2, v[14:15]
	v_mov_b32_e32 v3, s7
	v_add_co_u32_e32 v0, vcc, s6, v0
	v_addc_co_u32_e32 v1, vcc, v3, v1, vcc
	global_load_dword v0, v[0:1], off
	ds_read_u16 v1, v2 offset:14402
	ds_read_u16 v3, v22 offset:2
	v_add_f16_e32 v4, v6, v5
	v_sub_f16_e32 v5, v5, v6
	s_waitcnt lgkmcnt(0)
	v_add_f16_e32 v6, v1, v3
	v_sub_f16_e32 v1, v3, v1
	s_waitcnt vmcnt(0)
	v_lshrrev_b32_e32 v3, 16, v0
	v_fma_f16 v7, v5, v3, v4
	v_fma_f16 v8, v6, v3, v1
	v_fma_f16 v9, -v5, v3, v4
	v_fma_f16 v1, v6, v3, -v1
	v_fma_f16 v3, -v0, v6, v7
	v_fma_f16 v4, v5, v0, v8
	v_fma_f16 v6, v0, v6, v9
	;; [unrolled: 1-line block ×3, first 2 shown]
	v_pack_b32_f16 v0, v6, v0
	ds_write_b32 v2, v0 offset:14400
	v_mov_b32_e32 v0, v14
	v_mov_b32_e32 v1, v15
.LBB0_17:
	s_andn2_saveexec_b64 s[4:5], s[4:5]
	s_cbranch_execz .LBB0_19
; %bb.18:
	v_mov_b32_e32 v5, 0
	ds_read_b32 v0, v5 offset:7200
	s_mov_b32 s8, 0xc0004000
	s_waitcnt lgkmcnt(0)
	v_pk_mul_f16 v6, v0, s8
	v_mov_b32_e32 v0, 0
	v_mov_b32_e32 v1, 0
	ds_write_b32 v5, v6 offset:7200
.LBB0_19:
	s_or_b64 exec, exec, s[4:5]
	v_lshlrev_b64 v[0:1], 2, v[0:1]
	v_mov_b32_e32 v5, s7
	v_add_co_u32_e32 v0, vcc, s6, v0
	v_addc_co_u32_e32 v1, vcc, v5, v1, vcc
	global_load_dword v5, v[0:1], off offset:480
	global_load_dword v6, v[0:1], off offset:960
	;; [unrolled: 1-line block ×4, first 2 shown]
	s_mov_b32 s4, 0x5040100
	v_perm_b32 v3, v4, v3, s4
	ds_write_b32 v22, v3
	ds_read_b32 v3, v22 offset:480
	ds_read_b32 v4, v2 offset:13920
	global_load_dword v9, v[0:1], off offset:2400
	global_load_dword v10, v[0:1], off offset:2880
	;; [unrolled: 1-line block ×4, first 2 shown]
	s_movk_i32 s4, 0x1000
	v_add_co_u32_e32 v0, vcc, s4, v0
	s_waitcnt lgkmcnt(0)
	v_add_f16_e32 v18, v3, v4
	v_add_f16_sdwa v19, v4, v3 dst_sel:DWORD dst_unused:UNUSED_PAD src0_sel:WORD_1 src1_sel:WORD_1
	v_sub_f16_e32 v20, v3, v4
	v_sub_f16_sdwa v3, v3, v4 dst_sel:DWORD dst_unused:UNUSED_PAD src0_sel:WORD_1 src1_sel:WORD_1
	v_addc_co_u32_e32 v1, vcc, 0, v1, vcc
	v_add_u32_e32 v25, 0xa00, v22
	v_add_u32_e32 v24, 0x1600, v22
	;; [unrolled: 1-line block ×7, first 2 shown]
	s_movk_i32 s5, 0x3b9c
	s_movk_i32 s4, 0x38b4
	;; [unrolled: 1-line block ×3, first 2 shown]
	s_mov_b32 s8, 0xbb9c
	s_mov_b32 s7, 0xb8b4
	s_movk_i32 s9, 0x3a79
	v_add_u32_e32 v35, 0x2400, v22
	v_add_u32_e32 v34, 0x3000, v22
	s_movk_i32 s14, 0xcd
	s_waitcnt vmcnt(7)
	v_lshrrev_b32_e32 v4, 16, v5
	v_fma_f16 v21, v20, v4, v18
	v_fma_f16 v23, v19, v4, v3
	v_fma_f16 v18, -v20, v4, v18
	v_fma_f16 v3, v19, v4, -v3
	v_fma_f16 v4, -v5, v19, v21
	v_fma_f16 v21, v20, v5, v23
	v_fma_f16 v18, v5, v19, v18
	;; [unrolled: 1-line block ×3, first 2 shown]
	v_pack_b32_f16 v4, v4, v21
	v_pack_b32_f16 v3, v18, v3
	ds_write_b32 v22, v4 offset:480
	ds_write_b32 v2, v3 offset:13920
	ds_read_b32 v3, v22 offset:960
	ds_read_b32 v4, v2 offset:13440
	s_waitcnt vmcnt(6)
	v_lshrrev_b32_e32 v5, 16, v6
	v_add_u32_e32 v23, 0x2c00, v22
	s_waitcnt lgkmcnt(0)
	v_add_f16_e32 v18, v3, v4
	v_add_f16_sdwa v19, v4, v3 dst_sel:DWORD dst_unused:UNUSED_PAD src0_sel:WORD_1 src1_sel:WORD_1
	v_sub_f16_e32 v20, v3, v4
	v_sub_f16_sdwa v3, v3, v4 dst_sel:DWORD dst_unused:UNUSED_PAD src0_sel:WORD_1 src1_sel:WORD_1
	v_fma_f16 v4, v20, v5, v18
	v_fma_f16 v21, v19, v5, v3
	v_fma_f16 v18, -v20, v5, v18
	v_fma_f16 v3, v19, v5, -v3
	v_fma_f16 v4, -v6, v19, v4
	v_fma_f16 v5, v20, v6, v21
	v_fma_f16 v18, v6, v19, v18
	v_fma_f16 v3, v20, v6, v3
	v_pack_b32_f16 v4, v4, v5
	v_pack_b32_f16 v3, v18, v3
	ds_write_b32 v22, v4 offset:960
	ds_write_b32 v2, v3 offset:13440
	ds_read_b32 v3, v22 offset:1440
	ds_read_b32 v4, v2 offset:12960
	s_waitcnt vmcnt(5)
	v_lshrrev_b32_e32 v5, 16, v7
	s_waitcnt lgkmcnt(0)
	v_add_f16_e32 v6, v3, v4
	v_add_f16_sdwa v18, v4, v3 dst_sel:DWORD dst_unused:UNUSED_PAD src0_sel:WORD_1 src1_sel:WORD_1
	v_sub_f16_e32 v19, v3, v4
	v_sub_f16_sdwa v3, v3, v4 dst_sel:DWORD dst_unused:UNUSED_PAD src0_sel:WORD_1 src1_sel:WORD_1
	v_fma_f16 v4, v19, v5, v6
	v_fma_f16 v20, v18, v5, v3
	v_fma_f16 v6, -v19, v5, v6
	v_fma_f16 v3, v18, v5, -v3
	v_fma_f16 v4, -v7, v18, v4
	v_fma_f16 v5, v19, v7, v20
	v_fma_f16 v6, v7, v18, v6
	v_fma_f16 v3, v19, v7, v3
	v_pack_b32_f16 v4, v4, v5
	v_pack_b32_f16 v3, v6, v3
	ds_write_b32 v22, v4 offset:1440
	ds_write_b32 v2, v3 offset:12960
	ds_read_b32 v3, v22 offset:1920
	ds_read_b32 v4, v2 offset:12480
	s_waitcnt vmcnt(4)
	v_lshrrev_b32_e32 v5, 16, v8
	;; [unrolled: 21-line block ×3, first 2 shown]
	global_load_dword v5, v[0:1], off offset:224
	s_waitcnt lgkmcnt(0)
	v_add_f16_e32 v7, v3, v4
	v_add_f16_sdwa v8, v4, v3 dst_sel:DWORD dst_unused:UNUSED_PAD src0_sel:WORD_1 src1_sel:WORD_1
	v_sub_f16_e32 v18, v3, v4
	v_sub_f16_sdwa v3, v3, v4 dst_sel:DWORD dst_unused:UNUSED_PAD src0_sel:WORD_1 src1_sel:WORD_1
	v_fma_f16 v4, v18, v6, v7
	v_fma_f16 v19, v8, v6, v3
	v_fma_f16 v7, -v18, v6, v7
	v_fma_f16 v3, v8, v6, -v3
	v_fma_f16 v4, -v9, v8, v4
	v_fma_f16 v6, v18, v9, v19
	v_fma_f16 v7, v9, v8, v7
	;; [unrolled: 1-line block ×3, first 2 shown]
	v_pack_b32_f16 v4, v4, v6
	v_pack_b32_f16 v3, v7, v3
	ds_write_b32 v22, v4 offset:2400
	ds_write_b32 v2, v3 offset:12000
	ds_read_b32 v3, v22 offset:2880
	ds_read_b32 v4, v2 offset:11520
	s_waitcnt vmcnt(3)
	v_lshrrev_b32_e32 v7, 16, v10
	global_load_dword v6, v[0:1], off offset:704
	s_waitcnt lgkmcnt(0)
	v_add_f16_e32 v8, v3, v4
	v_add_f16_sdwa v9, v4, v3 dst_sel:DWORD dst_unused:UNUSED_PAD src0_sel:WORD_1 src1_sel:WORD_1
	v_sub_f16_e32 v18, v3, v4
	v_sub_f16_sdwa v3, v3, v4 dst_sel:DWORD dst_unused:UNUSED_PAD src0_sel:WORD_1 src1_sel:WORD_1
	v_fma_f16 v4, v18, v7, v8
	v_fma_f16 v19, v9, v7, v3
	v_fma_f16 v8, -v18, v7, v8
	v_fma_f16 v3, v9, v7, -v3
	v_fma_f16 v4, -v10, v9, v4
	v_fma_f16 v7, v18, v10, v19
	v_fma_f16 v8, v10, v9, v8
	;; [unrolled: 1-line block ×3, first 2 shown]
	v_pack_b32_f16 v4, v4, v7
	v_pack_b32_f16 v3, v8, v3
	ds_write_b32 v22, v4 offset:2880
	ds_write_b32 v2, v3 offset:11520
	ds_read_b32 v3, v22 offset:3360
	ds_read_b32 v4, v2 offset:11040
	s_waitcnt vmcnt(3)
	v_lshrrev_b32_e32 v7, 16, v11
	s_waitcnt lgkmcnt(0)
	v_add_f16_e32 v8, v3, v4
	v_add_f16_sdwa v9, v4, v3 dst_sel:DWORD dst_unused:UNUSED_PAD src0_sel:WORD_1 src1_sel:WORD_1
	v_sub_f16_e32 v10, v3, v4
	v_sub_f16_sdwa v3, v3, v4 dst_sel:DWORD dst_unused:UNUSED_PAD src0_sel:WORD_1 src1_sel:WORD_1
	v_fma_f16 v4, v10, v7, v8
	v_fma_f16 v18, v9, v7, v3
	v_fma_f16 v4, -v11, v9, v4
	v_fma_f16 v18, v10, v11, v18
	v_pack_b32_f16 v4, v4, v18
	ds_write_b32 v22, v4 offset:3360
	v_fma_f16 v4, -v10, v7, v8
	v_fma_f16 v3, v9, v7, -v3
	v_fma_f16 v4, v11, v9, v4
	v_fma_f16 v3, v10, v11, v3
	v_pack_b32_f16 v3, v4, v3
	ds_write_b32 v2, v3 offset:11040
	ds_read_b32 v3, v22 offset:3840
	ds_read_b32 v4, v2 offset:10560
	global_load_dword v7, v[0:1], off offset:1184
	s_waitcnt lgkmcnt(0)
	v_add_f16_e32 v8, v3, v4
	v_add_f16_sdwa v9, v4, v3 dst_sel:DWORD dst_unused:UNUSED_PAD src0_sel:WORD_1 src1_sel:WORD_1
	v_sub_f16_e32 v10, v3, v4
	v_sub_f16_sdwa v3, v3, v4 dst_sel:DWORD dst_unused:UNUSED_PAD src0_sel:WORD_1 src1_sel:WORD_1
	s_waitcnt vmcnt(3)
	v_lshrrev_b32_e32 v4, 16, v15
	v_fma_f16 v11, v10, v4, v8
	v_fma_f16 v18, v9, v4, v3
	v_fma_f16 v8, -v10, v4, v8
	v_fma_f16 v3, v9, v4, -v3
	v_fma_f16 v11, -v15, v9, v11
	v_fma_f16 v18, v10, v15, v18
	v_fma_f16 v8, v15, v9, v8
	v_fma_f16 v3, v10, v15, v3
	v_pack_b32_f16 v11, v11, v18
	v_pack_b32_f16 v3, v8, v3
	ds_write_b32 v22, v11 offset:3840
	ds_write_b32 v2, v3 offset:10560
	ds_read_b32 v3, v22 offset:4320
	ds_read_b32 v4, v2 offset:10080
	global_load_dword v8, v[0:1], off offset:1664
	s_waitcnt lgkmcnt(0)
	v_add_f16_e32 v9, v3, v4
	v_add_f16_sdwa v10, v4, v3 dst_sel:DWORD dst_unused:UNUSED_PAD src0_sel:WORD_1 src1_sel:WORD_1
	v_sub_f16_e32 v11, v3, v4
	v_sub_f16_sdwa v3, v3, v4 dst_sel:DWORD dst_unused:UNUSED_PAD src0_sel:WORD_1 src1_sel:WORD_1
	global_load_dword v4, v[0:1], off offset:2144
	global_load_dword v15, v[0:1], off offset:2624
	s_waitcnt vmcnt(5)
	v_lshrrev_b32_e32 v0, 16, v5
	v_fma_f16 v1, v11, v0, v9
	v_fma_f16 v18, v10, v0, v3
	v_fma_f16 v1, -v5, v10, v1
	v_fma_f16 v18, v11, v5, v18
	v_pack_b32_f16 v1, v1, v18
	ds_write_b32 v22, v1 offset:4320
	v_fma_f16 v1, -v11, v0, v9
	v_fma_f16 v0, v10, v0, -v3
	v_fma_f16 v1, v5, v10, v1
	v_fma_f16 v0, v11, v5, v0
	v_pack_b32_f16 v0, v1, v0
	ds_write_b32 v2, v0 offset:10080
	ds_read_b32 v0, v22 offset:4800
	ds_read_b32 v1, v2 offset:9600
	s_waitcnt lgkmcnt(0)
	v_add_f16_e32 v3, v0, v1
	v_add_f16_sdwa v5, v1, v0 dst_sel:DWORD dst_unused:UNUSED_PAD src0_sel:WORD_1 src1_sel:WORD_1
	v_sub_f16_e32 v9, v0, v1
	v_sub_f16_sdwa v0, v0, v1 dst_sel:DWORD dst_unused:UNUSED_PAD src0_sel:WORD_1 src1_sel:WORD_1
	s_waitcnt vmcnt(4)
	v_lshrrev_b32_e32 v1, 16, v6
	v_fma_f16 v10, v9, v1, v3
	v_fma_f16 v11, v5, v1, v0
	v_fma_f16 v3, -v9, v1, v3
	v_fma_f16 v0, v5, v1, -v0
	v_fma_f16 v10, -v6, v5, v10
	v_fma_f16 v11, v9, v6, v11
	v_fma_f16 v3, v6, v5, v3
	v_fma_f16 v0, v9, v6, v0
	v_pack_b32_f16 v10, v10, v11
	v_pack_b32_f16 v0, v3, v0
	ds_write_b32 v22, v10 offset:4800
	ds_write_b32 v2, v0 offset:9600
	ds_read_b32 v0, v22 offset:5280
	ds_read_b32 v1, v2 offset:9120
	s_waitcnt lgkmcnt(0)
	v_add_f16_e32 v3, v0, v1
	v_add_f16_sdwa v5, v1, v0 dst_sel:DWORD dst_unused:UNUSED_PAD src0_sel:WORD_1 src1_sel:WORD_1
	v_sub_f16_e32 v6, v0, v1
	v_sub_f16_sdwa v0, v0, v1 dst_sel:DWORD dst_unused:UNUSED_PAD src0_sel:WORD_1 src1_sel:WORD_1
	s_waitcnt vmcnt(3)
	v_lshrrev_b32_e32 v1, 16, v7
	v_fma_f16 v9, v6, v1, v3
	v_fma_f16 v10, v5, v1, v0
	v_fma_f16 v3, -v6, v1, v3
	v_fma_f16 v0, v5, v1, -v0
	v_fma_f16 v9, -v7, v5, v9
	v_fma_f16 v10, v6, v7, v10
	v_fma_f16 v3, v7, v5, v3
	v_fma_f16 v0, v6, v7, v0
	v_pack_b32_f16 v9, v9, v10
	v_pack_b32_f16 v0, v3, v0
	ds_write_b32 v22, v9 offset:5280
	;; [unrolled: 21-line block ×4, first 2 shown]
	ds_write_b32 v2, v0 offset:8160
	ds_read_b32 v0, v22 offset:6720
	ds_read_b32 v1, v2 offset:7680
	s_waitcnt lgkmcnt(0)
	v_add_f16_e32 v3, v0, v1
	v_add_f16_sdwa v4, v1, v0 dst_sel:DWORD dst_unused:UNUSED_PAD src0_sel:WORD_1 src1_sel:WORD_1
	v_sub_f16_e32 v5, v0, v1
	v_sub_f16_sdwa v0, v0, v1 dst_sel:DWORD dst_unused:UNUSED_PAD src0_sel:WORD_1 src1_sel:WORD_1
	s_waitcnt vmcnt(0)
	v_lshrrev_b32_e32 v1, 16, v15
	v_fma_f16 v6, v5, v1, v3
	v_fma_f16 v7, v4, v1, v0
	v_fma_f16 v3, -v5, v1, v3
	v_fma_f16 v0, v4, v1, -v0
	v_fma_f16 v6, -v15, v4, v6
	v_fma_f16 v7, v5, v15, v7
	v_fma_f16 v3, v15, v4, v3
	;; [unrolled: 1-line block ×3, first 2 shown]
	v_pack_b32_f16 v6, v6, v7
	v_pack_b32_f16 v0, v3, v0
	v_add_u32_e32 v15, 0x2000, v22
	ds_write_b32 v22, v6 offset:6720
	ds_write_b32 v2, v0 offset:7680
	s_waitcnt lgkmcnt(0)
	s_barrier
	s_barrier
	ds_read2_b32 v[0:1], v25 offset0:80 offset1:200
	ds_read2_b32 v[4:5], v24 offset0:32 offset1:152
	;; [unrolled: 1-line block ×8, first 2 shown]
	s_waitcnt lgkmcnt(4)
	v_sub_f16_e32 v8, v7, v3
	v_sub_f16_e32 v9, v1, v5
	ds_read2_b32 v[38:39], v28 offset0:96 offset1:216
	v_add_f16_e32 v50, v9, v8
	v_sub_f16_sdwa v8, v1, v5 dst_sel:DWORD dst_unused:UNUSED_PAD src0_sel:WORD_1 src1_sel:WORD_1
	v_sub_f16_sdwa v9, v7, v3 dst_sel:DWORD dst_unused:UNUSED_PAD src0_sel:WORD_1 src1_sel:WORD_1
	v_add_f16_e32 v51, v8, v9
	s_waitcnt lgkmcnt(2)
	v_sub_f16_e32 v8, v20, v18
	s_waitcnt lgkmcnt(1)
	v_sub_f16_e32 v9, v10, v36
	v_add_f16_e32 v52, v9, v8
	v_sub_f16_sdwa v8, v10, v36 dst_sel:DWORD dst_unused:UNUSED_PAD src0_sel:WORD_1 src1_sel:WORD_1
	v_sub_f16_sdwa v9, v20, v18 dst_sel:DWORD dst_unused:UNUSED_PAD src0_sel:WORD_1 src1_sel:WORD_1
	v_add_f16_e32 v53, v8, v9
	v_add_f16_e32 v8, v36, v18
	s_waitcnt lgkmcnt(0)
	v_fma_f16 v54, v8, -0.5, v38
	v_sub_f16_sdwa v55, v10, v20 dst_sel:DWORD dst_unused:UNUSED_PAD src0_sel:WORD_1 src1_sel:WORD_1
	v_fma_f16 v8, v55, s5, v54
	v_sub_f16_sdwa v56, v36, v18 dst_sel:DWORD dst_unused:UNUSED_PAD src0_sel:WORD_1 src1_sel:WORD_1
	v_fma_f16 v8, v56, s4, v8
	v_fma_f16 v31, v52, s6, v8
	v_add_f16_sdwa v8, v36, v18 dst_sel:DWORD dst_unused:UNUSED_PAD src0_sel:WORD_1 src1_sel:WORD_1
	v_lshrrev_b32_e32 v57, 16, v38
	v_fma_f16 v58, v8, -0.5, v57
	v_sub_f16_e32 v59, v10, v20
	v_fma_f16 v8, v59, s8, v58
	v_sub_f16_e32 v60, v36, v18
	v_fma_f16 v8, v60, s7, v8
	v_fma_f16 v32, v53, s6, v8
	ds_read2_b32 v[8:9], v22 offset1:120
	v_mul_f16_e32 v33, 0x3a79, v31
	v_mul_f16_e32 v31, 0xb8b4, v31
	v_fma_f16 v62, v32, s9, v31
	v_add_f16_e32 v31, v5, v3
	s_waitcnt lgkmcnt(0)
	v_fma_f16 v63, v31, -0.5, v9
	v_sub_f16_sdwa v64, v1, v7 dst_sel:DWORD dst_unused:UNUSED_PAD src0_sel:WORD_1 src1_sel:WORD_1
	v_fma_f16 v31, v64, s5, v63
	v_sub_f16_sdwa v65, v5, v3 dst_sel:DWORD dst_unused:UNUSED_PAD src0_sel:WORD_1 src1_sel:WORD_1
	v_fma_f16 v31, v65, s4, v31
	v_fma_f16 v66, v50, s6, v31
	v_add_f16_sdwa v31, v5, v3 dst_sel:DWORD dst_unused:UNUSED_PAD src0_sel:WORD_1 src1_sel:WORD_1
	v_lshrrev_b32_e32 v67, 16, v9
	v_fma_f16 v68, v31, -0.5, v67
	v_sub_f16_e32 v69, v1, v7
	v_fma_f16 v31, v69, s8, v68
	v_sub_f16_e32 v70, v5, v3
	v_fma_f16 v31, v70, s7, v31
	v_fma_f16 v61, v32, s4, v33
	;; [unrolled: 1-line block ×3, first 2 shown]
	v_add_f16_e32 v31, v66, v61
	v_add_f16_e32 v32, v71, v62
	v_pack_b32_f16 v72, v31, v32
	v_mul_u32_u24_e32 v31, 10, v14
	v_lshl_add_u32 v73, v31, 2, 0
	v_pk_add_f16 v31, v9, v1
	v_pk_add_f16 v31, v31, v5
	;; [unrolled: 1-line block ×8, first 2 shown]
	v_add_u32_e32 v33, 0x200, v22
	v_add_u32_e32 v76, 0x12c0, v73
	v_pk_add_f16 v77, v74, v75
	v_add_u32_e32 v32, 0xe00, v22
	v_add_u32_e32 v31, 0x1a00, v22
	ds_read2_b32 v[40:41], v33 offset0:112 offset1:232
	ds_read2_b32 v[42:43], v32 offset0:64 offset1:184
	;; [unrolled: 1-line block ×5, first 2 shown]
	s_waitcnt lgkmcnt(0)
	s_barrier
	ds_write2_b32 v76, v77, v72 offset1:1
	v_sub_f16_e32 v72, v3, v7
	v_sub_f16_e32 v76, v5, v1
	v_add_f16_e32 v72, v76, v72
	v_add_f16_e32 v76, v1, v7
	v_fma_f16 v9, v76, -0.5, v9
	v_fma_f16 v76, v65, s8, v9
	v_fma_f16 v9, v65, s5, v9
	;; [unrolled: 1-line block ×6, first 2 shown]
	v_add_f16_sdwa v72, v1, v7 dst_sel:DWORD dst_unused:UNUSED_PAD src0_sel:WORD_1 src1_sel:WORD_1
	v_fma_f16 v67, v72, -0.5, v67
	v_sub_f16_sdwa v1, v5, v1 dst_sel:DWORD dst_unused:UNUSED_PAD src0_sel:WORD_1 src1_sel:WORD_1
	v_sub_f16_sdwa v3, v3, v7 dst_sel:DWORD dst_unused:UNUSED_PAD src0_sel:WORD_1 src1_sel:WORD_1
	v_add_f16_e32 v1, v1, v3
	v_fma_f16 v3, v70, s5, v67
	v_fma_f16 v5, v70, s8, v67
	;; [unrolled: 1-line block ×6, first 2 shown]
	v_sub_f16_e32 v5, v18, v20
	v_sub_f16_e32 v7, v36, v10
	v_add_f16_e32 v5, v7, v5
	v_add_f16_e32 v7, v10, v20
	v_fma_f16 v7, v7, -0.5, v38
	v_fma_f16 v38, v56, s8, v7
	v_fma_f16 v7, v56, s5, v7
	;; [unrolled: 1-line block ×6, first 2 shown]
	v_add_f16_sdwa v7, v10, v20 dst_sel:DWORD dst_unused:UNUSED_PAD src0_sel:WORD_1 src1_sel:WORD_1
	v_fma_f16 v7, v7, -0.5, v57
	v_sub_f16_sdwa v10, v36, v10 dst_sel:DWORD dst_unused:UNUSED_PAD src0_sel:WORD_1 src1_sel:WORD_1
	v_sub_f16_sdwa v18, v18, v20 dst_sel:DWORD dst_unused:UNUSED_PAD src0_sel:WORD_1 src1_sel:WORD_1
	v_add_f16_e32 v10, v10, v18
	v_fma_f16 v18, v60, s5, v7
	v_fma_f16 v18, v59, s7, v18
	;; [unrolled: 1-line block ×5, first 2 shown]
	v_mul_f16_e32 v20, 0xbb9c, v38
	v_fma_f16 v7, v10, s6, v7
	v_mul_f16_e32 v10, 0x3b9c, v18
	v_fma_f16 v18, v18, s6, v20
	v_mul_f16_e32 v20, 0x34f2, v5
	v_fma_f16 v20, v7, s5, -v20
	v_mul_f16_e32 v7, 0x34f2, v7
	v_fma_f16 v5, v5, s8, -v7
	v_fma_f16 v10, v38, s6, v10
	v_add_f16_e32 v7, v9, v20
	v_add_f16_e32 v36, v1, v5
	v_pack_b32_f16 v7, v7, v36
	v_add_f16_e32 v36, v76, v10
	v_add_f16_e32 v38, v3, v18
	v_pack_b32_f16 v36, v36, v38
	v_add_u32_e32 v38, 0x12c8, v73
	ds_write2_b32 v38, v36, v7 offset1:1
	v_fma_f16 v7, v64, s8, v63
	v_fma_f16 v7, v65, s7, v7
	;; [unrolled: 1-line block ×12, first 2 shown]
	v_mul_f16_e32 v51, 0x3a79, v38
	v_fma_f16 v51, v50, s4, -v51
	v_mul_f16_e32 v50, 0x3a79, v50
	v_fma_f16 v38, v38, s7, -v50
	v_add_f16_e32 v52, v7, v51
	v_add_f16_e32 v53, v36, v38
	v_pk_add_f16 v50, v74, v75 neg_lo:[0,1] neg_hi:[0,1]
	v_pack_b32_f16 v52, v52, v53
	v_add_u32_e32 v53, 0x12d0, v73
	ds_write2_b32 v53, v52, v50 offset1:1
	v_sub_f16_e32 v50, v66, v61
	v_sub_f16_e32 v10, v76, v10
	;; [unrolled: 1-line block ×4, first 2 shown]
	v_pack_b32_f16 v18, v50, v52
	v_pack_b32_f16 v3, v10, v3
	v_add_u32_e32 v10, 0x12d8, v73
	ds_write2_b32 v10, v18, v3 offset1:1
	v_sub_f16_e32 v3, v9, v20
	v_sub_f16_e32 v7, v7, v51
	;; [unrolled: 1-line block ×4, first 2 shown]
	v_pack_b32_f16 v5, v7, v5
	v_pack_b32_f16 v1, v3, v1
	v_add_u32_e32 v3, 0x12e0, v73
	ds_write2_b32 v3, v1, v5 offset1:1
	v_pk_add_f16 v1, v39, v11
	v_pk_add_f16 v1, v1, v37
	v_add_f16_e32 v3, v37, v19
	v_sub_f16_sdwa v20, v11, v37 dst_sel:DWORD dst_unused:UNUSED_PAD src0_sel:WORD_1 src1_sel:WORD_1
	v_pk_add_f16 v1, v1, v19
	v_sub_f16_sdwa v53, v21, v19 dst_sel:DWORD dst_unused:UNUSED_PAD src0_sel:WORD_1 src1_sel:WORD_1
	v_sub_f16_sdwa v5, v37, v19 dst_sel:DWORD dst_unused:UNUSED_PAD src0_sel:WORD_1 src1_sel:WORD_1
	v_sub_f16_e32 v7, v11, v37
	v_sub_f16_e32 v9, v37, v11
	v_add_f16_sdwa v10, v37, v19 dst_sel:DWORD dst_unused:UNUSED_PAD src0_sel:WORD_1 src1_sel:WORD_1
	v_sub_f16_e32 v18, v37, v19
	v_sub_f16_sdwa v36, v37, v11 dst_sel:DWORD dst_unused:UNUSED_PAD src0_sel:WORD_1 src1_sel:WORD_1
	v_sub_f16_sdwa v37, v11, v21 dst_sel:DWORD dst_unused:UNUSED_PAD src0_sel:WORD_1 src1_sel:WORD_1
	v_add_f16_e32 v38, v11, v21
	v_sub_f16_e32 v50, v11, v21
	v_add_f16_sdwa v11, v11, v21 dst_sel:DWORD dst_unused:UNUSED_PAD src0_sel:WORD_1 src1_sel:WORD_1
	v_sub_f16_e32 v51, v21, v19
	v_sub_f16_e32 v52, v19, v21
	v_sub_f16_sdwa v19, v19, v21 dst_sel:DWORD dst_unused:UNUSED_PAD src0_sel:WORD_1 src1_sel:WORD_1
	v_pk_add_f16 v1, v1, v21
	v_sub_f16_e32 v21, v48, v46
	v_sub_f16_e32 v54, v42, v44
	v_add_f16_e32 v20, v20, v53
	v_fma_f16 v3, v3, -0.5, v39
	v_lshrrev_b32_e32 v53, 16, v39
	v_add_f16_e32 v21, v54, v21
	v_sub_f16_sdwa v54, v42, v44 dst_sel:DWORD dst_unused:UNUSED_PAD src0_sel:WORD_1 src1_sel:WORD_1
	v_sub_f16_sdwa v55, v48, v46 dst_sel:DWORD dst_unused:UNUSED_PAD src0_sel:WORD_1 src1_sel:WORD_1
	v_add_f16_e32 v7, v7, v51
	v_fma_f16 v51, v37, s5, v3
	v_fma_f16 v10, v10, -0.5, v53
	v_add_f16_e32 v54, v54, v55
	v_fma_f16 v51, v5, s4, v51
	v_fma_f16 v55, v50, s8, v10
	;; [unrolled: 1-line block ×5, first 2 shown]
	v_mul_f16_e32 v56, 0x3a79, v51
	v_mul_f16_e32 v51, 0xb8b4, v51
	v_fma_f16 v56, v55, s4, v56
	v_fma_f16 v51, v55, s9, v51
	v_add_f16_e32 v55, v44, v46
	v_add_f16_sdwa v60, v44, v46 dst_sel:DWORD dst_unused:UNUSED_PAD src0_sel:WORD_1 src1_sel:WORD_1
	v_lshrrev_b32_e32 v61, 16, v40
	v_fma_f16 v55, v55, -0.5, v40
	v_sub_f16_sdwa v57, v42, v48 dst_sel:DWORD dst_unused:UNUSED_PAD src0_sel:WORD_1 src1_sel:WORD_1
	v_fma_f16 v60, v60, -0.5, v61
	v_sub_f16_e32 v62, v42, v48
	v_fma_f16 v58, v57, s5, v55
	v_sub_f16_sdwa v59, v44, v46 dst_sel:DWORD dst_unused:UNUSED_PAD src0_sel:WORD_1 src1_sel:WORD_1
	v_fma_f16 v63, v62, s8, v60
	v_sub_f16_e32 v64, v44, v46
	v_fma_f16 v58, v59, s4, v58
	v_fma_f16 v63, v64, s7, v63
	;; [unrolled: 1-line block ×4, first 2 shown]
	v_add_f16_e32 v65, v58, v56
	v_add_f16_e32 v66, v63, v51
	v_pack_b32_f16 v65, v65, v66
	v_pk_add_f16 v66, v40, v42
	v_pk_add_f16 v66, v66, v44
	;; [unrolled: 1-line block ×4, first 2 shown]
	v_add_u32_e32 v67, 0x2580, v73
	v_pk_add_f16 v68, v66, v1
	ds_write2_b32 v67, v68, v65 offset1:1
	v_fma_f16 v38, v38, -0.5, v39
	v_sub_f16_e32 v39, v46, v48
	v_sub_f16_e32 v65, v44, v42
	v_add_f16_e32 v39, v65, v39
	v_add_f16_e32 v65, v42, v48
	v_fma_f16 v40, v65, -0.5, v40
	v_fma_f16 v65, v59, s8, v40
	v_fma_f16 v40, v59, s5, v40
	;; [unrolled: 1-line block ×6, first 2 shown]
	v_add_f16_sdwa v40, v42, v48 dst_sel:DWORD dst_unused:UNUSED_PAD src0_sel:WORD_1 src1_sel:WORD_1
	v_fma_f16 v40, v40, -0.5, v61
	v_sub_f16_sdwa v42, v44, v42 dst_sel:DWORD dst_unused:UNUSED_PAD src0_sel:WORD_1 src1_sel:WORD_1
	v_sub_f16_sdwa v44, v46, v48 dst_sel:DWORD dst_unused:UNUSED_PAD src0_sel:WORD_1 src1_sel:WORD_1
	v_add_f16_e32 v42, v42, v44
	v_fma_f16 v44, v64, s5, v40
	v_fma_f16 v40, v64, s8, v40
	;; [unrolled: 1-line block ×7, first 2 shown]
	v_fma_f16 v11, v11, -0.5, v53
	v_add_f16_e32 v9, v9, v52
	v_fma_f16 v42, v37, s4, v42
	v_fma_f16 v38, v5, s5, v38
	v_add_f16_e32 v19, v36, v19
	v_fma_f16 v36, v18, s5, v11
	v_fma_f16 v42, v9, s6, v42
	;; [unrolled: 1-line block ×8, first 2 shown]
	v_mul_f16_e32 v38, 0xbb9c, v42
	v_fma_f16 v11, v19, s6, v11
	v_mul_f16_e32 v19, 0x3b9c, v36
	v_fma_f16 v36, v36, s6, v38
	v_mul_f16_e32 v38, 0x34f2, v9
	v_fma_f16 v38, v11, s5, -v38
	v_mul_f16_e32 v11, 0x34f2, v11
	v_fma_f16 v9, v9, s8, -v11
	v_fma_f16 v19, v42, s6, v19
	v_add_f16_e32 v11, v39, v38
	v_add_f16_e32 v42, v40, v9
	v_pack_b32_f16 v11, v11, v42
	v_add_f16_e32 v42, v65, v19
	v_add_f16_e32 v46, v44, v36
	v_pack_b32_f16 v42, v42, v46
	v_add_u32_e32 v46, 0x2588, v73
	v_fma_f16 v3, v37, s8, v3
	ds_write2_b32 v46, v42, v11 offset1:1
	v_fma_f16 v11, v57, s8, v55
	v_fma_f16 v3, v5, s7, v3
	;; [unrolled: 1-line block ×9, first 2 shown]
	v_mul_f16_e32 v7, 0x3a79, v3
	v_fma_f16 v21, v64, s4, v21
	v_fma_f16 v7, v5, s4, -v7
	v_mul_f16_e32 v5, 0x3a79, v5
	v_fma_f16 v21, v54, s6, v21
	v_fma_f16 v3, v3, s7, -v5
	v_add_f16_e32 v5, v11, v7
	v_add_f16_e32 v10, v21, v3
	v_pk_add_f16 v1, v66, v1 neg_lo:[0,1] neg_hi:[0,1]
	v_pack_b32_f16 v5, v5, v10
	v_add_u32_e32 v10, 0x2590, v73
	ds_write2_b32 v10, v5, v1 offset1:1
	v_pk_add_f16 v1, v8, v0
	v_pk_add_f16 v1, v1, v4
	;; [unrolled: 1-line block ×3, first 2 shown]
	v_add_f16_e32 v5, v4, v2
	v_sub_f16_sdwa v10, v4, v2 dst_sel:DWORD dst_unused:UNUSED_PAD src0_sel:WORD_1 src1_sel:WORD_1
	v_sub_f16_e32 v18, v0, v4
	v_sub_f16_e32 v20, v4, v0
	v_add_f16_sdwa v37, v4, v2 dst_sel:DWORD dst_unused:UNUSED_PAD src0_sel:WORD_1 src1_sel:WORD_1
	v_sub_f16_e32 v42, v4, v2
	v_sub_f16_sdwa v46, v0, v4 dst_sel:DWORD dst_unused:UNUSED_PAD src0_sel:WORD_1 src1_sel:WORD_1
	v_sub_f16_sdwa v4, v4, v0 dst_sel:DWORD dst_unused:UNUSED_PAD src0_sel:WORD_1 src1_sel:WORD_1
	;; [unrolled: 1-line block ×3, first 2 shown]
	v_add_f16_e32 v50, v0, v6
	v_sub_f16_e32 v52, v0, v6
	v_add_f16_sdwa v0, v0, v6 dst_sel:DWORD dst_unused:UNUSED_PAD src0_sel:WORD_1 src1_sel:WORD_1
	v_sub_f16_e32 v53, v6, v2
	v_sub_f16_e32 v54, v2, v6
	v_sub_f16_sdwa v55, v6, v2 dst_sel:DWORD dst_unused:UNUSED_PAD src0_sel:WORD_1 src1_sel:WORD_1
	v_sub_f16_sdwa v2, v2, v6 dst_sel:DWORD dst_unused:UNUSED_PAD src0_sel:WORD_1 src1_sel:WORD_1
	v_pk_add_f16 v1, v1, v6
	v_pk_add_f16 v6, v41, v43
	;; [unrolled: 1-line block ×3, first 2 shown]
	v_add_f16_e32 v57, v45, v47
	v_add_f16_e32 v68, v43, v49
	v_pk_add_f16 v6, v6, v47
	v_sub_f16_sdwa v59, v45, v47 dst_sel:DWORD dst_unused:UNUSED_PAD src0_sel:WORD_1 src1_sel:WORD_1
	v_sub_f16_e32 v60, v43, v45
	v_sub_f16_e32 v61, v45, v43
	v_add_f16_sdwa v62, v45, v47 dst_sel:DWORD dst_unused:UNUSED_PAD src0_sel:WORD_1 src1_sel:WORD_1
	v_sub_f16_e32 v64, v45, v47
	v_sub_f16_sdwa v66, v43, v45 dst_sel:DWORD dst_unused:UNUSED_PAD src0_sel:WORD_1 src1_sel:WORD_1
	v_sub_f16_sdwa v45, v45, v43 dst_sel:DWORD dst_unused:UNUSED_PAD src0_sel:WORD_1 src1_sel:WORD_1
	;; [unrolled: 1-line block ×3, first 2 shown]
	v_sub_f16_e32 v69, v43, v49
	v_add_f16_sdwa v43, v43, v49 dst_sel:DWORD dst_unused:UNUSED_PAD src0_sel:WORD_1 src1_sel:WORD_1
	v_sub_f16_e32 v70, v49, v47
	v_sub_f16_e32 v71, v47, v49
	v_sub_f16_sdwa v72, v49, v47 dst_sel:DWORD dst_unused:UNUSED_PAD src0_sel:WORD_1 src1_sel:WORD_1
	v_sub_f16_sdwa v47, v47, v49 dst_sel:DWORD dst_unused:UNUSED_PAD src0_sel:WORD_1 src1_sel:WORD_1
	v_pk_add_f16 v6, v6, v49
	v_add_f16_e32 v18, v18, v53
	v_fma_f16 v5, v5, -0.5, v8
	v_fma_f16 v49, v50, -0.5, v8
	v_lshrrev_b32_e32 v8, 16, v8
	v_add_f16_e32 v46, v46, v55
	v_fma_f16 v53, v57, -0.5, v41
	v_fma_f16 v55, v68, -0.5, v41
	v_lshrrev_b32_e32 v41, 16, v41
	v_fma_f16 v62, v62, -0.5, v41
	v_fma_f16 v0, v0, -0.5, v8
	;; [unrolled: 1-line block ×3, first 2 shown]
	v_add_f16_e32 v20, v20, v54
	v_fma_f16 v54, v10, s8, v49
	v_fma_f16 v49, v10, s5, v49
	v_add_f16_e32 v2, v4, v2
	v_fma_f16 v4, v42, s5, v0
	v_fma_f16 v0, v42, s8, v0
	v_add_f16_e32 v43, v45, v47
	v_fma_f16 v45, v64, s5, v41
	v_fma_f16 v37, v37, -0.5, v8
	v_fma_f16 v54, v48, s4, v54
	v_fma_f16 v49, v48, s7, v49
	;; [unrolled: 1-line block ×7, first 2 shown]
	v_add_f16_e32 v50, v60, v70
	v_fma_f16 v60, v67, s5, v53
	v_fma_f16 v54, v20, s6, v54
	;; [unrolled: 1-line block ×5, first 2 shown]
	v_add_f16_e32 v2, v61, v71
	v_fma_f16 v8, v67, s4, v8
	v_fma_f16 v49, v59, s5, v55
	v_fma_f16 v45, v43, s6, v45
	v_fma_f16 v41, v69, s4, v41
	v_add_f16_e32 v57, v66, v72
	v_fma_f16 v60, v59, s4, v60
	v_fma_f16 v66, v69, s8, v62
	;; [unrolled: 1-line block ×5, first 2 shown]
	v_mul_f16_e32 v43, 0x3b9c, v45
	v_fma_f16 v60, v50, s6, v60
	v_fma_f16 v66, v64, s7, v66
	;; [unrolled: 1-line block ×4, first 2 shown]
	v_mul_f16_e32 v8, 0xbb9c, v8
	v_fma_f16 v66, v57, s6, v66
	v_mul_f16_e32 v68, 0x3a79, v60
	v_mul_f16_e32 v60, 0xb8b4, v60
	v_fma_f16 v8, v45, s6, v8
	v_mul_f16_e32 v45, 0x34f2, v2
	v_fma_f16 v68, v66, s4, v68
	v_fma_f16 v60, v66, s9, v60
	;; [unrolled: 1-line block ×3, first 2 shown]
	v_fma_f16 v45, v41, s5, -v45
	v_mul_f16_e32 v41, 0x34f2, v41
	v_fma_f16 v5, v48, s8, v5
	v_fma_f16 v66, v10, s4, v66
	v_fma_f16 v2, v2, s8, -v41
	v_fma_f16 v5, v10, s7, v5
	v_fma_f16 v66, v18, s6, v66
	v_add_f16_e32 v41, v20, v45
	v_add_f16_e32 v47, v0, v2
	v_fma_f16 v5, v18, s6, v5
	v_fma_f16 v18, v67, s8, v53
	;; [unrolled: 1-line block ×3, first 2 shown]
	v_pack_b32_f16 v41, v41, v47
	v_add_f16_e32 v47, v54, v43
	v_add_f16_e32 v49, v4, v8
	v_fma_f16 v10, v52, s5, v37
	v_fma_f16 v18, v59, s7, v18
	;; [unrolled: 1-line block ×3, first 2 shown]
	v_pack_b32_f16 v47, v47, v49
	v_fma_f16 v18, v50, s6, v18
	v_fma_f16 v37, v64, s4, v37
	;; [unrolled: 1-line block ×3, first 2 shown]
	ds_write2_b32 v73, v47, v41 offset0:2 offset1:3
	v_fma_f16 v37, v57, s6, v37
	v_mul_f16_e32 v41, 0x3a79, v18
	v_fma_f16 v70, v46, s6, v70
	v_fma_f16 v10, v42, s4, v10
	v_fma_f16 v41, v37, s4, -v41
	v_mul_f16_e32 v37, 0x3a79, v37
	v_add_f16_e32 v72, v66, v68
	v_add_f16_e32 v74, v70, v60
	v_fma_f16 v10, v46, s6, v10
	v_fma_f16 v18, v18, s7, -v37
	v_pack_b32_f16 v72, v72, v74
	v_pk_add_f16 v74, v1, v6
	v_pk_add_f16 v1, v1, v6 neg_lo:[0,1] neg_hi:[0,1]
	v_add_f16_e32 v6, v5, v41
	v_add_f16_e32 v37, v10, v18
	v_pack_b32_f16 v6, v6, v37
	ds_write2_b32 v73, v6, v1 offset0:4 offset1:5
	v_sub_f16_e32 v1, v66, v68
	v_sub_f16_e32 v6, v54, v43
	;; [unrolled: 1-line block ×4, first 2 shown]
	v_pack_b32_f16 v1, v1, v37
	v_pack_b32_f16 v4, v6, v4
	ds_write2_b32 v73, v1, v4 offset0:6 offset1:7
	v_sub_f16_e32 v1, v20, v45
	v_sub_f16_e32 v4, v5, v41
	;; [unrolled: 1-line block ×9, first 2 shown]
	v_pack_b32_f16 v2, v4, v2
	v_pack_b32_f16 v0, v1, v0
	v_sub_f16_e32 v8, v39, v38
	v_sub_f16_e32 v9, v40, v9
	;; [unrolled: 1-line block ×3, first 2 shown]
	ds_write2_b32 v73, v0, v2 offset0:8 offset1:9
	v_add_u32_e32 v0, 0x2598, v73
	v_pack_b32_f16 v1, v5, v10
	v_pack_b32_f16 v2, v6, v11
	ds_write2_b32 v0, v1, v2 offset1:1
	v_add_u32_e32 v0, 0x25a0, v73
	v_pack_b32_f16 v1, v7, v3
	v_pack_b32_f16 v2, v8, v9
	ds_write2_b32 v0, v2, v1 offset1:1
	v_mul_lo_u16_sdwa v0, v14, s14 dst_sel:DWORD dst_unused:UNUSED_PAD src0_sel:BYTE_0 src1_sel:DWORD
	v_lshrrev_b16_e32 v37, 11, v0
	v_mul_lo_u16_e32 v0, 10, v37
	v_sub_u16_e32 v50, v14, v0
	v_mov_b32_e32 v0, 9
	v_mul_u32_u24_sdwa v1, v50, v0 dst_sel:DWORD dst_unused:UNUSED_PAD src0_sel:BYTE_0 src1_sel:DWORD
	v_lshlrev_b32_e32 v44, 2, v1
	ds_write2_b32 v73, v74, v72 offset1:1
	s_waitcnt lgkmcnt(0)
	s_barrier
	global_load_dwordx4 v[2:5], v44, s[12:13]
	v_add_u16_e32 v11, 0x78, v14
	v_mul_lo_u16_sdwa v1, v11, s14 dst_sel:DWORD dst_unused:UNUSED_PAD src0_sel:BYTE_0 src1_sel:DWORD
	v_lshrrev_b16_e32 v40, 11, v1
	v_mul_lo_u16_e32 v1, 10, v40
	v_sub_u16_e32 v41, v11, v1
	v_mul_u32_u24_sdwa v0, v41, v0 dst_sel:DWORD dst_unused:UNUSED_PAD src0_sel:BYTE_0 src1_sel:DWORD
	v_lshlrev_b32_e32 v64, 2, v0
	global_load_dwordx4 v[18:21], v64, s[12:13]
	s_mov_b32 s14, 0xcccd
	v_add_u32_e32 v36, 0xf0, v14
	v_mul_u32_u24_sdwa v0, v36, s14 dst_sel:DWORD dst_unused:UNUSED_PAD src0_sel:WORD_0 src1_sel:DWORD
	v_lshrrev_b32_e32 v38, 19, v0
	v_mul_lo_u16_e32 v0, 10, v38
	v_sub_u16_e32 v39, v36, v0
	v_mul_u32_u24_e32 v0, 9, v39
	v_lshlrev_b32_e32 v57, 2, v0
	global_load_dwordx4 v[69:72], v57, s[12:13]
	global_load_dwordx4 v[75:78], v44, s[12:13] offset:16
	ds_read2_b32 v[8:9], v33 offset0:112 offset1:232
	ds_read2_b32 v[6:7], v25 offset0:80 offset1:200
	;; [unrolled: 1-line block ×3, first 2 shown]
	global_load_dword v74, v44, s[12:13] offset:32
	ds_read2_b32 v[47:48], v30 offset0:48 offset1:168
	s_waitcnt lgkmcnt(3)
	v_lshrrev_b32_e32 v0, 16, v9
	v_mul_u32_u24_e32 v40, 0x190, v40
	v_mul_u32_u24_e32 v38, 0x190, v38
	v_lshlrev_b32_e32 v39, 2, v39
	v_add3_u32 v38, 0, v38, v39
	s_waitcnt vmcnt(4)
	v_mul_f16_sdwa v1, v2, v9 dst_sel:DWORD dst_unused:UNUSED_PAD src0_sel:WORD_1 src1_sel:DWORD
	v_fma_f16 v51, v2, v0, v1
	v_mul_f16_sdwa v0, v2, v0 dst_sel:DWORD dst_unused:UNUSED_PAD src0_sel:WORD_1 src1_sel:DWORD
	v_fma_f16 v52, v2, v9, -v0
	ds_read2_b32 v[9:10], v32 offset0:64 offset1:184
	s_waitcnt lgkmcnt(3)
	v_lshrrev_b32_e32 v0, 16, v6
	v_mul_f16_sdwa v1, v6, v3 dst_sel:DWORD dst_unused:UNUSED_PAD src0_sel:DWORD src1_sel:WORD_1
	v_fma_f16 v55, v0, v3, v1
	v_mul_f16_sdwa v0, v0, v3 dst_sel:DWORD dst_unused:UNUSED_PAD src0_sel:DWORD src1_sel:WORD_1
	v_fma_f16 v62, v6, v3, -v0
	global_load_dwordx4 v[0:3], v64, s[12:13] offset:16
	s_waitcnt lgkmcnt(0)
	v_lshrrev_b32_e32 v6, 16, v10
	v_mul_f16_sdwa v45, v10, v4 dst_sel:DWORD dst_unused:UNUSED_PAD src0_sel:DWORD src1_sel:WORD_1
	v_fma_f16 v65, v6, v4, v45
	v_mul_f16_sdwa v6, v6, v4 dst_sel:DWORD dst_unused:UNUSED_PAD src0_sel:DWORD src1_sel:WORD_1
	v_fma_f16 v66, v10, v4, -v6
	v_lshrrev_b32_e32 v4, 16, v42
	v_mul_f16_sdwa v6, v42, v5 dst_sel:DWORD dst_unused:UNUSED_PAD src0_sel:DWORD src1_sel:WORD_1
	v_fma_f16 v67, v4, v5, v6
	v_mul_f16_sdwa v4, v4, v5 dst_sel:DWORD dst_unused:UNUSED_PAD src0_sel:DWORD src1_sel:WORD_1
	v_fma_f16 v68, v42, v5, -v4
	v_lshrrev_b32_e32 v4, 16, v7
	s_waitcnt vmcnt(4)
	v_mul_f16_sdwa v5, v4, v19 dst_sel:DWORD dst_unused:UNUSED_PAD src0_sel:DWORD src1_sel:WORD_1
	v_fma_f16 v61, v7, v19, -v5
	v_mul_f16_sdwa v5, v7, v19 dst_sel:DWORD dst_unused:UNUSED_PAD src0_sel:DWORD src1_sel:WORD_1
	v_fma_f16 v56, v4, v19, v5
	v_lshrrev_b32_e32 v4, 16, v43
	v_mul_f16_sdwa v5, v4, v21 dst_sel:DWORD dst_unused:UNUSED_PAD src0_sel:DWORD src1_sel:WORD_1
	v_fma_f16 v63, v43, v21, -v5
	v_mul_f16_sdwa v5, v43, v21 dst_sel:DWORD dst_unused:UNUSED_PAD src0_sel:DWORD src1_sel:WORD_1
	v_fma_f16 v59, v4, v21, v5
	global_load_dwordx4 v[4:7], v57, s[12:13] offset:16
	ds_read2_b32 v[44:45], v28 offset0:96 offset1:216
	global_load_dword v57, v57, s[12:13] offset:32
	s_waitcnt lgkmcnt(0)
	v_lshrrev_b32_e32 v10, 16, v44
	v_mul_f16_sdwa v19, v44, v18 dst_sel:DWORD dst_unused:UNUSED_PAD src0_sel:DWORD src1_sel:WORD_1
	v_fma_f16 v53, v10, v18, v19
	v_mul_f16_sdwa v10, v10, v18 dst_sel:DWORD dst_unused:UNUSED_PAD src0_sel:DWORD src1_sel:WORD_1
	v_fma_f16 v58, v44, v18, -v10
	v_lshrrev_b32_e32 v10, 16, v47
	v_mul_f16_sdwa v18, v47, v20 dst_sel:DWORD dst_unused:UNUSED_PAD src0_sel:DWORD src1_sel:WORD_1
	v_fma_f16 v54, v10, v20, v18
	v_mul_f16_sdwa v10, v10, v20 dst_sel:DWORD dst_unused:UNUSED_PAD src0_sel:DWORD src1_sel:WORD_1
	v_fma_f16 v60, v47, v20, -v10
	v_lshrrev_b32_e32 v10, 16, v45
	s_waitcnt vmcnt(5)
	v_mul_f16_sdwa v18, v10, v69 dst_sel:DWORD dst_unused:UNUSED_PAD src0_sel:DWORD src1_sel:WORD_1
	v_fma_f16 v43, v45, v69, -v18
	v_mul_f16_sdwa v18, v45, v69 dst_sel:DWORD dst_unused:UNUSED_PAD src0_sel:DWORD src1_sel:WORD_1
	v_fma_f16 v42, v10, v69, v18
	v_lshrrev_b32_e32 v10, 16, v9
	v_mul_f16_sdwa v18, v10, v70 dst_sel:DWORD dst_unused:UNUSED_PAD src0_sel:DWORD src1_sel:WORD_1
	v_fma_f16 v47, v9, v70, -v18
	v_mul_f16_sdwa v9, v9, v70 dst_sel:DWORD dst_unused:UNUSED_PAD src0_sel:DWORD src1_sel:WORD_1
	v_fma_f16 v46, v10, v70, v9
	ds_read2_b32 v[9:10], v31 offset0:16 offset1:136
	v_lshrrev_b32_e32 v18, 16, v48
	v_mul_f16_sdwa v19, v18, v71 dst_sel:DWORD dst_unused:UNUSED_PAD src0_sel:DWORD src1_sel:WORD_1
	v_fma_f16 v45, v48, v71, -v19
	v_mul_f16_sdwa v19, v48, v71 dst_sel:DWORD dst_unused:UNUSED_PAD src0_sel:DWORD src1_sel:WORD_1
	v_fma_f16 v44, v18, v71, v19
	s_waitcnt lgkmcnt(0)
	v_lshrrev_b32_e32 v18, 16, v9
	v_mul_f16_sdwa v19, v9, v72 dst_sel:DWORD dst_unused:UNUSED_PAD src0_sel:DWORD src1_sel:WORD_1
	v_fma_f16 v48, v18, v72, v19
	v_mul_f16_sdwa v18, v18, v72 dst_sel:DWORD dst_unused:UNUSED_PAD src0_sel:DWORD src1_sel:WORD_1
	v_fma_f16 v49, v9, v72, -v18
	ds_read2_b32 v[18:19], v15 offset0:112 offset1:232
	v_lshrrev_b32_e32 v9, 16, v10
	s_waitcnt vmcnt(4)
	v_mul_f16_sdwa v20, v9, v75 dst_sel:DWORD dst_unused:UNUSED_PAD src0_sel:DWORD src1_sel:WORD_1
	v_fma_f16 v70, v10, v75, -v20
	v_mul_f16_sdwa v10, v10, v75 dst_sel:DWORD dst_unused:UNUSED_PAD src0_sel:DWORD src1_sel:WORD_1
	v_fma_f16 v69, v9, v75, v10
	s_waitcnt lgkmcnt(0)
	v_lshrrev_b32_e32 v20, 16, v18
	ds_read2_b32 v[9:10], v35 offset0:96 offset1:216
	v_mul_f16_sdwa v21, v18, v76 dst_sel:DWORD dst_unused:UNUSED_PAD src0_sel:DWORD src1_sel:WORD_1
	v_fma_f16 v71, v20, v76, v21
	v_mul_f16_sdwa v20, v20, v76 dst_sel:DWORD dst_unused:UNUSED_PAD src0_sel:DWORD src1_sel:WORD_1
	v_fma_f16 v73, v18, v76, -v20
	ds_read2_b32 v[20:21], v23 offset0:64 offset1:184
	s_waitcnt lgkmcnt(1)
	v_lshrrev_b32_e32 v72, 16, v10
	v_mul_f16_sdwa v18, v10, v77 dst_sel:DWORD dst_unused:UNUSED_PAD src0_sel:DWORD src1_sel:WORD_1
	v_fma_f16 v18, v72, v77, v18
	v_mul_f16_sdwa v72, v72, v77 dst_sel:DWORD dst_unused:UNUSED_PAD src0_sel:DWORD src1_sel:WORD_1
	v_fma_f16 v10, v10, v77, -v72
	s_waitcnt lgkmcnt(0)
	v_lshrrev_b32_e32 v75, 16, v20
	v_mul_f16_sdwa v72, v20, v78 dst_sel:DWORD dst_unused:UNUSED_PAD src0_sel:DWORD src1_sel:WORD_1
	v_fma_f16 v72, v75, v78, v72
	v_mul_f16_sdwa v75, v75, v78 dst_sel:DWORD dst_unused:UNUSED_PAD src0_sel:DWORD src1_sel:WORD_1
	v_fma_f16 v20, v20, v78, -v75
	v_lshrrev_b32_e32 v75, 16, v19
	s_waitcnt vmcnt(2)
	v_mul_f16_sdwa v76, v75, v1 dst_sel:DWORD dst_unused:UNUSED_PAD src0_sel:DWORD src1_sel:WORD_1
	v_fma_f16 v79, v19, v1, -v76
	v_mul_f16_sdwa v19, v19, v1 dst_sel:DWORD dst_unused:UNUSED_PAD src0_sel:DWORD src1_sel:WORD_1
	v_fma_f16 v19, v75, v1, v19
	v_lshrrev_b32_e32 v1, 16, v21
	ds_read2_b32 v[75:76], v29 offset0:128 offset1:248
	v_mul_f16_sdwa v77, v1, v3 dst_sel:DWORD dst_unused:UNUSED_PAD src0_sel:DWORD src1_sel:WORD_1
	v_fma_f16 v80, v21, v3, -v77
	ds_read2_b32 v[77:78], v27 offset0:80 offset1:200
	v_mul_f16_sdwa v21, v21, v3 dst_sel:DWORD dst_unused:UNUSED_PAD src0_sel:DWORD src1_sel:WORD_1
	v_fma_f16 v21, v1, v3, v21
	s_waitcnt lgkmcnt(1)
	v_lshrrev_b32_e32 v1, 16, v75
	v_mul_f16_sdwa v3, v75, v0 dst_sel:DWORD dst_unused:UNUSED_PAD src0_sel:DWORD src1_sel:WORD_1
	v_fma_f16 v81, v1, v0, v3
	v_mul_f16_sdwa v1, v1, v0 dst_sel:DWORD dst_unused:UNUSED_PAD src0_sel:DWORD src1_sel:WORD_1
	global_load_dword v64, v64, s[12:13] offset:32
	v_fma_f16 v75, v75, v0, -v1
	s_waitcnt lgkmcnt(0)
	v_lshrrev_b32_e32 v0, 16, v77
	v_mul_f16_sdwa v1, v77, v2 dst_sel:DWORD dst_unused:UNUSED_PAD src0_sel:DWORD src1_sel:WORD_1
	v_fma_f16 v82, v0, v2, v1
	v_mul_f16_sdwa v0, v0, v2 dst_sel:DWORD dst_unused:UNUSED_PAD src0_sel:DWORD src1_sel:WORD_1
	v_fma_f16 v77, v77, v2, -v0
	v_lshrrev_b32_e32 v0, 16, v76
	s_waitcnt vmcnt(2)
	v_mul_f16_sdwa v1, v0, v4 dst_sel:DWORD dst_unused:UNUSED_PAD src0_sel:DWORD src1_sel:WORD_1
	v_fma_f16 v83, v76, v4, -v1
	v_mul_f16_sdwa v1, v76, v4 dst_sel:DWORD dst_unused:UNUSED_PAD src0_sel:DWORD src1_sel:WORD_1
	v_fma_f16 v4, v0, v4, v1
	v_lshrrev_b32_e32 v0, 16, v9
	v_mul_f16_sdwa v1, v0, v5 dst_sel:DWORD dst_unused:UNUSED_PAD src0_sel:DWORD src1_sel:WORD_1
	v_fma_f16 v76, v9, v5, -v1
	v_mul_f16_sdwa v1, v9, v5 dst_sel:DWORD dst_unused:UNUSED_PAD src0_sel:DWORD src1_sel:WORD_1
	v_fma_f16 v5, v0, v5, v1
	ds_read2_b32 v[0:1], v34 offset0:48 offset1:168
	v_lshrrev_b32_e32 v2, 16, v78
	v_mul_f16_sdwa v3, v2, v6 dst_sel:DWORD dst_unused:UNUSED_PAD src0_sel:DWORD src1_sel:WORD_1
	v_fma_f16 v9, v78, v6, -v3
	v_mul_f16_sdwa v3, v78, v6 dst_sel:DWORD dst_unused:UNUSED_PAD src0_sel:DWORD src1_sel:WORD_1
	v_fma_f16 v6, v2, v6, v3
	s_waitcnt lgkmcnt(0)
	v_lshrrev_b32_e32 v2, 16, v0
	v_mul_f16_sdwa v3, v0, v7 dst_sel:DWORD dst_unused:UNUSED_PAD src0_sel:DWORD src1_sel:WORD_1
	v_fma_f16 v78, v2, v7, v3
	v_mul_f16_sdwa v2, v2, v7 dst_sel:DWORD dst_unused:UNUSED_PAD src0_sel:DWORD src1_sel:WORD_1
	v_fma_f16 v7, v0, v7, -v2
	v_lshrrev_b32_e32 v0, 16, v1
	v_mul_f16_sdwa v2, v0, v74 dst_sel:DWORD dst_unused:UNUSED_PAD src0_sel:DWORD src1_sel:WORD_1
	v_fma_f16 v84, v1, v74, -v2
	v_mul_f16_sdwa v1, v1, v74 dst_sel:DWORD dst_unused:UNUSED_PAD src0_sel:DWORD src1_sel:WORD_1
	v_fma_f16 v74, v0, v74, v1
	v_sub_f16_e32 v0, v62, v68
	v_sub_f16_e32 v1, v20, v73
	v_add_f16_e32 v85, v0, v1
	v_sub_f16_e32 v0, v55, v67
	v_sub_f16_e32 v1, v72, v71
	v_add_f16_e32 v86, v0, v1
	;; [unrolled: 3-line block ×4, first 2 shown]
	v_add_f16_e32 v1, v69, v18
	v_add_f16_e32 v0, v70, v10
	v_fma_f16 v92, v1, -0.5, v51
	v_sub_f16_e32 v93, v66, v84
	v_fma_f16 v89, v0, -0.5, v52
	v_sub_f16_e32 v90, v65, v74
	v_fma_f16 v1, v93, s8, v92
	v_sub_f16_e32 v94, v70, v10
	v_fma_f16 v0, v90, s5, v89
	;; [unrolled: 2-line block ×3, first 2 shown]
	v_fma_f16 v0, v91, s4, v0
	v_fma_f16 v1, v88, s6, v1
	;; [unrolled: 1-line block ×3, first 2 shown]
	v_mul_f16_e32 v2, 0x38b4, v1
	v_fma_f16 v95, v0, s9, v2
	v_mul_f16_e32 v0, 0xb8b4, v0
	v_fma_f16 v96, v1, s9, v0
	ds_read2_b32 v[0:1], v22 offset1:120
	v_mul_u32_u24_e32 v2, 0x190, v37
	v_mov_b32_e32 v37, 2
	v_lshlrev_b32_sdwa v3, v37, v50 dst_sel:DWORD dst_unused:UNUSED_PAD src0_sel:DWORD src1_sel:BYTE_0
	v_add3_u32 v50, 0, v2, v3
	s_waitcnt lgkmcnt(0)
	v_add_f16_e32 v2, v0, v62
	v_add_f16_e32 v2, v2, v68
	;; [unrolled: 1-line block ×3, first 2 shown]
	v_lshrrev_b32_e32 v98, 16, v0
	v_add_f16_e32 v97, v2, v20
	v_add_f16_e32 v2, v98, v55
	;; [unrolled: 1-line block ×15, first 2 shown]
	v_pack_b32_f16 v102, v2, v3
	v_add_f16_e32 v2, v68, v73
	v_sub_f16_e32 v108, v62, v20
	v_sub_f16_e32 v109, v68, v73
	;; [unrolled: 1-line block ×3, first 2 shown]
	v_add_f16_e32 v62, v62, v20
	v_fma_f16 v103, v2, -0.5, v0
	v_sub_f16_e32 v105, v67, v71
	v_fma_f16 v0, v62, -0.5, v0
	v_sub_f16_e32 v104, v55, v72
	v_sub_f16_e32 v20, v73, v20
	v_fma_f16 v62, v105, s8, v0
	v_fma_f16 v0, v105, s5, v0
	;; [unrolled: 1-line block ×3, first 2 shown]
	v_add_f16_e32 v20, v68, v20
	v_fma_f16 v62, v104, s4, v62
	v_fma_f16 v0, v104, s7, v0
	;; [unrolled: 1-line block ×5, first 2 shown]
	v_add_f16_e32 v20, v55, v72
	v_fma_f16 v106, v85, s6, v2
	v_add_f16_e32 v2, v67, v71
	v_fma_f16 v20, v20, -0.5, v98
	v_sub_f16_e32 v55, v67, v55
	v_sub_f16_e32 v67, v71, v72
	v_add_f16_e32 v55, v55, v67
	v_fma_f16 v67, v109, s5, v20
	v_fma_f16 v20, v109, s8, v20
	v_fma_f16 v67, v108, s7, v67
	v_fma_f16 v20, v108, s4, v20
	v_fma_f16 v67, v55, s6, v67
	v_fma_f16 v20, v55, s6, v20
	v_add_f16_e32 v55, v66, v84
	v_fma_f16 v52, v55, -0.5, v52
	v_sub_f16_e32 v55, v70, v66
	v_sub_f16_e32 v10, v10, v84
	v_add_f16_e32 v10, v55, v10
	v_fma_f16 v55, v91, s8, v52
	v_fma_f16 v52, v91, s5, v52
	v_fma_f16 v55, v90, s4, v55
	v_fma_f16 v52, v90, s7, v52
	v_fma_f16 v55, v10, s6, v55
	;; [unrolled: 11-line block ×3, first 2 shown]
	v_fma_f16 v18, v18, s6, v51
	v_mul_f16_e32 v51, 0x3b9c, v52
	v_fma_f16 v51, v55, s6, v51
	v_mul_f16_e32 v55, 0xbb9c, v55
	;; [unrolled: 2-line block ×3, first 2 shown]
	v_fma_f16 v55, v18, s5, -v55
	v_mul_f16_e32 v18, 0x34f2, v18
	v_fma_f16 v107, v2, -0.5, v98
	v_fma_f16 v10, v10, s8, -v18
	v_add_f16_e32 v18, v62, v51
	v_add_f16_e32 v65, v67, v52
	v_fma_f16 v2, v108, s8, v107
	v_pack_b32_f16 v18, v18, v65
	v_add_f16_e32 v65, v0, v55
	v_add_f16_e32 v66, v20, v10
	v_fma_f16 v2, v109, s7, v2
	v_pack_b32_f16 v65, v65, v66
	v_fma_f16 v66, v90, s8, v89
	v_fma_f16 v110, v86, s6, v2
	;; [unrolled: 1-line block ×4, first 2 shown]
	v_add_f16_e32 v2, v106, v95
	v_add_f16_e32 v3, v110, v96
	v_fma_f16 v66, v87, s6, v66
	v_fma_f16 v68, v94, s4, v68
	v_pack_b32_f16 v111, v2, v3
	ds_read2_b32 v[2:3], v26 offset0:32 offset1:152
	s_waitcnt vmcnt(0) lgkmcnt(0)
	s_barrier
	ds_write2_b32 v50, v18, v65 offset0:20 offset1:30
	v_fma_f16 v18, v104, s8, v103
	v_fma_f16 v65, v108, s5, v107
	;; [unrolled: 1-line block ×3, first 2 shown]
	v_mul_f16_e32 v69, 0x3a79, v66
	v_fma_f16 v18, v105, s7, v18
	v_fma_f16 v65, v109, s4, v65
	v_fma_f16 v69, v68, s4, -v69
	v_mul_f16_e32 v68, 0x3a79, v68
	v_fma_f16 v18, v85, s6, v18
	v_fma_f16 v65, v86, s6, v65
	v_fma_f16 v66, v66, s7, -v68
	v_sub_f16_e32 v68, v97, v100
	v_sub_f16_e32 v70, v99, v101
	v_add_f16_e32 v71, v18, v69
	v_add_f16_e32 v72, v65, v66
	v_pack_b32_f16 v71, v71, v72
	v_pack_b32_f16 v68, v68, v70
	v_sub_f16_e32 v0, v0, v55
	v_sub_f16_e32 v18, v18, v69
	;; [unrolled: 1-line block ×4, first 2 shown]
	ds_write2_b32 v50, v71, v68 offset0:40 offset1:50
	v_sub_f16_e32 v68, v106, v95
	v_sub_f16_e32 v51, v62, v51
	;; [unrolled: 1-line block ×4, first 2 shown]
	v_pack_b32_f16 v0, v0, v10
	v_pack_b32_f16 v10, v18, v20
	;; [unrolled: 1-line block ×4, first 2 shown]
	ds_write2_b32 v50, v0, v10 offset0:80 offset1:90
	v_lshrrev_b32_e32 v0, 16, v2
	v_mul_f16_sdwa v10, v2, v64 dst_sel:DWORD dst_unused:UNUSED_PAD src0_sel:DWORD src1_sel:WORD_1
	ds_write2_b32 v50, v102, v111 offset1:10
	ds_write2_b32 v50, v62, v51 offset0:60 offset1:70
	v_fma_f16 v10, v0, v64, v10
	v_mul_f16_sdwa v0, v0, v64 dst_sel:DWORD dst_unused:UNUSED_PAD src0_sel:DWORD src1_sel:WORD_1
	v_sub_f16_e32 v50, v61, v63
	v_sub_f16_e32 v51, v80, v79
	v_fma_f16 v0, v2, v64, -v0
	v_add_f16_e32 v50, v50, v51
	v_sub_f16_e32 v51, v56, v59
	v_sub_f16_e32 v52, v21, v19
	v_add_f16_e32 v51, v51, v52
	v_sub_f16_e32 v52, v60, v75
	v_sub_f16_e32 v55, v0, v77
	;; [unrolled: 3-line block ×3, first 2 shown]
	v_add_f16_e32 v67, v81, v82
	v_add_f16_e32 v55, v55, v62
	;; [unrolled: 1-line block ×3, first 2 shown]
	v_fma_f16 v67, v67, -0.5, v53
	v_sub_f16_e32 v68, v60, v0
	v_fma_f16 v62, v62, -0.5, v58
	v_sub_f16_e32 v64, v54, v10
	v_fma_f16 v69, v68, s8, v67
	v_sub_f16_e32 v70, v75, v77
	v_fma_f16 v65, v64, s5, v62
	;; [unrolled: 2-line block ×3, first 2 shown]
	v_fma_f16 v65, v66, s4, v65
	v_fma_f16 v69, v55, s6, v69
	;; [unrolled: 1-line block ×3, first 2 shown]
	v_mul_f16_e32 v71, 0x38b4, v69
	v_add_f16_e32 v2, v63, v79
	v_add_f16_e32 v18, v61, v80
	v_lshrrev_b32_e32 v20, 16, v1
	v_fma_f16 v71, v65, s9, v71
	v_mul_f16_e32 v65, 0xb8b4, v65
	v_lshlrev_b32_sdwa v41, v37, v41 dst_sel:DWORD dst_unused:UNUSED_PAD src0_sel:DWORD src1_sel:BYTE_0
	v_fma_f16 v2, v2, -0.5, v1
	v_fma_f16 v18, v18, -0.5, v1
	v_add_f16_e32 v1, v1, v61
	v_fma_f16 v65, v69, s9, v65
	v_add3_u32 v40, 0, v40, v41
	v_add_f16_e32 v41, v20, v56
	v_add_f16_e32 v69, v58, v60
	;; [unrolled: 1-line block ×17, first 2 shown]
	v_sub_f16_e32 v85, v59, v19
	v_sub_f16_e32 v87, v61, v80
	;; [unrolled: 1-line block ×5, first 2 shown]
	v_pack_b32_f16 v73, v73, v74
	v_sub_f16_e32 v74, v56, v21
	v_add_f16_e32 v61, v61, v63
	v_fma_f16 v63, v85, s8, v18
	v_fma_f16 v18, v85, s5, v18
	;; [unrolled: 1-line block ×4, first 2 shown]
	v_add_f16_e32 v86, v59, v19
	v_fma_f16 v63, v61, s6, v63
	v_fma_f16 v18, v61, s6, v18
	v_add_f16_e32 v61, v56, v21
	v_fma_f16 v86, v86, -0.5, v20
	v_fma_f16 v20, v61, -0.5, v20
	v_sub_f16_e32 v56, v59, v56
	v_sub_f16_e32 v19, v19, v21
	v_fma_f16 v21, v89, s5, v20
	v_fma_f16 v20, v89, s8, v20
	v_add_f16_e32 v19, v56, v19
	v_fma_f16 v21, v87, s7, v21
	v_fma_f16 v20, v87, s4, v20
	;; [unrolled: 1-line block ×4, first 2 shown]
	v_add_f16_e32 v20, v60, v0
	v_fma_f16 v20, v20, -0.5, v58
	v_sub_f16_e32 v56, v75, v60
	v_sub_f16_e32 v0, v77, v0
	v_add_f16_e32 v0, v56, v0
	v_fma_f16 v56, v66, s8, v20
	v_fma_f16 v20, v66, s5, v20
	;; [unrolled: 1-line block ×6, first 2 shown]
	v_add_f16_e32 v20, v54, v10
	v_fma_f16 v20, v20, -0.5, v53
	v_sub_f16_e32 v53, v81, v54
	v_sub_f16_e32 v10, v82, v10
	v_add_f16_e32 v10, v53, v10
	v_fma_f16 v53, v70, s5, v20
	v_fma_f16 v53, v68, s7, v53
	;; [unrolled: 1-line block ×5, first 2 shown]
	v_mul_f16_e32 v54, 0xbb9c, v56
	v_fma_f16 v10, v10, s6, v20
	v_mul_f16_e32 v20, 0x3b9c, v53
	v_fma_f16 v53, v53, s6, v54
	;; [unrolled: 2-line block ×3, first 2 shown]
	v_fma_f16 v54, v10, s5, -v54
	v_mul_f16_e32 v10, 0x34f2, v10
	v_fma_f16 v0, v0, s8, -v10
	v_add_f16_e32 v10, v63, v20
	v_add_f16_e32 v56, v21, v53
	v_pack_b32_f16 v10, v10, v56
	v_add_f16_e32 v56, v18, v54
	v_add_f16_e32 v58, v19, v0
	v_fma_f16 v84, v74, s5, v2
	v_pack_b32_f16 v56, v56, v58
	v_fma_f16 v2, v74, s8, v2
	v_fma_f16 v84, v85, s4, v84
	;; [unrolled: 1-line block ×3, first 2 shown]
	ds_write2_b32 v40, v10, v56 offset0:20 offset1:30
	v_fma_f16 v2, v85, s7, v2
	v_fma_f16 v10, v87, s5, v86
	;; [unrolled: 1-line block ×14, first 2 shown]
	v_mul_f16_e32 v52, 0x3a79, v50
	v_fma_f16 v52, v51, s4, -v52
	v_mul_f16_e32 v51, 0x3a79, v51
	v_fma_f16 v50, v50, s7, -v51
	v_sub_f16_e32 v1, v1, v69
	v_sub_f16_e32 v41, v41, v72
	v_add_f16_e32 v51, v2, v52
	v_add_f16_e32 v55, v10, v50
	v_pack_b32_f16 v51, v51, v55
	v_pack_b32_f16 v1, v1, v41
	ds_write2_b32 v40, v51, v1 offset0:40 offset1:50
	v_sub_f16_e32 v1, v84, v71
	v_sub_f16_e32 v20, v63, v20
	;; [unrolled: 1-line block ×4, first 2 shown]
	v_pack_b32_f16 v1, v1, v41
	v_pack_b32_f16 v20, v20, v21
	ds_write2_b32 v40, v1, v20 offset0:60 offset1:70
	v_sub_f16_e32 v1, v18, v54
	v_sub_f16_e32 v2, v2, v52
	;; [unrolled: 1-line block ×4, first 2 shown]
	v_pack_b32_f16 v0, v1, v0
	v_pack_b32_f16 v1, v2, v10
	ds_write2_b32 v40, v0, v1 offset0:80 offset1:90
	v_lshrrev_b32_e32 v0, 16, v3
	v_mul_f16_sdwa v1, v0, v57 dst_sel:DWORD dst_unused:UNUSED_PAD src0_sel:DWORD src1_sel:WORD_1
	v_sub_f16_e32 v18, v47, v49
	v_sub_f16_e32 v19, v7, v76
	v_add_f16_e32 v90, v84, v71
	v_add_f16_e32 v91, v88, v65
	v_fma_f16 v1, v3, v57, -v1
	v_mul_f16_sdwa v2, v3, v57 dst_sel:DWORD dst_unused:UNUSED_PAD src0_sel:DWORD src1_sel:WORD_1
	v_add_f16_e32 v18, v18, v19
	v_sub_f16_e32 v19, v46, v48
	v_sub_f16_e32 v20, v78, v5
	v_pack_b32_f16 v90, v90, v91
	v_fma_f16 v0, v0, v57, v2
	v_add_f16_e32 v19, v19, v20
	v_sub_f16_e32 v20, v45, v83
	v_sub_f16_e32 v21, v1, v9
	ds_write2_b32 v40, v73, v90 offset1:10
	v_add_f16_e32 v20, v20, v21
	v_sub_f16_e32 v21, v44, v4
	v_sub_f16_e32 v40, v0, v6
	v_add_f16_e32 v52, v4, v6
	v_add_f16_e32 v21, v21, v40
	;; [unrolled: 1-line block ×3, first 2 shown]
	v_fma_f16 v52, v52, -0.5, v42
	v_sub_f16_e32 v53, v45, v1
	v_fma_f16 v40, v40, -0.5, v43
	v_sub_f16_e32 v41, v44, v0
	v_fma_f16 v54, v53, s8, v52
	v_sub_f16_e32 v55, v83, v9
	v_fma_f16 v50, v41, s5, v40
	;; [unrolled: 2-line block ×3, first 2 shown]
	v_fma_f16 v50, v51, s4, v50
	v_fma_f16 v54, v21, s6, v54
	;; [unrolled: 1-line block ×3, first 2 shown]
	v_mul_f16_e32 v56, 0x38b4, v54
	v_add_f16_e32 v2, v49, v76
	v_add_f16_e32 v3, v47, v7
	v_lshrrev_b32_e32 v10, 16, v8
	v_fma_f16 v56, v50, s9, v56
	v_mul_f16_e32 v50, 0xb8b4, v50
	v_fma_f16 v2, v2, -0.5, v8
	v_fma_f16 v3, v3, -0.5, v8
	v_add_f16_e32 v8, v8, v47
	v_fma_f16 v50, v54, s9, v50
	v_add_f16_e32 v39, v10, v46
	v_add_f16_e32 v54, v43, v45
	;; [unrolled: 1-line block ×17, first 2 shown]
	v_sub_f16_e32 v61, v48, v5
	v_sub_f16_e32 v63, v47, v7
	;; [unrolled: 1-line block ×4, first 2 shown]
	v_pack_b32_f16 v58, v58, v59
	v_sub_f16_e32 v59, v46, v78
	v_add_f16_e32 v7, v47, v7
	v_fma_f16 v47, v61, s8, v3
	v_fma_f16 v3, v61, s5, v3
	;; [unrolled: 1-line block ×4, first 2 shown]
	v_add_f16_e32 v62, v48, v5
	v_fma_f16 v47, v7, s6, v47
	v_fma_f16 v3, v7, s6, v3
	v_add_f16_e32 v7, v46, v78
	v_fma_f16 v62, v62, -0.5, v10
	v_sub_f16_e32 v65, v49, v76
	v_fma_f16 v7, v7, -0.5, v10
	v_sub_f16_e32 v10, v48, v46
	v_sub_f16_e32 v5, v5, v78
	v_add_f16_e32 v5, v10, v5
	v_fma_f16 v10, v65, s5, v7
	v_fma_f16 v7, v65, s8, v7
	;; [unrolled: 1-line block ×6, first 2 shown]
	v_add_f16_e32 v7, v45, v1
	v_fma_f16 v7, v7, -0.5, v43
	v_sub_f16_e32 v43, v83, v45
	v_sub_f16_e32 v1, v9, v1
	v_fma_f16 v9, v51, s8, v7
	v_fma_f16 v7, v51, s5, v7
	v_add_f16_e32 v1, v43, v1
	v_fma_f16 v9, v41, s4, v9
	v_fma_f16 v7, v41, s7, v7
	;; [unrolled: 1-line block ×4, first 2 shown]
	v_add_f16_e32 v7, v44, v0
	v_fma_f16 v7, v7, -0.5, v42
	v_sub_f16_e32 v4, v4, v44
	v_sub_f16_e32 v0, v6, v0
	v_add_f16_e32 v0, v4, v0
	v_fma_f16 v4, v55, s5, v7
	v_fma_f16 v4, v53, s7, v4
	;; [unrolled: 1-line block ×5, first 2 shown]
	v_mul_f16_e32 v7, 0xbb9c, v9
	v_fma_f16 v0, v0, s6, v6
	v_mul_f16_e32 v6, 0x3b9c, v4
	v_fma_f16 v4, v4, s6, v7
	;; [unrolled: 2-line block ×3, first 2 shown]
	v_fma_f16 v7, v0, s5, -v7
	v_mul_f16_e32 v0, 0x34f2, v0
	v_fma_f16 v0, v1, s8, -v0
	v_add_f16_e32 v1, v47, v6
	v_add_f16_e32 v9, v10, v4
	v_pack_b32_f16 v1, v1, v9
	v_add_f16_e32 v9, v3, v7
	v_add_f16_e32 v42, v5, v0
	v_pack_b32_f16 v9, v9, v42
	v_fma_f16 v60, v59, s5, v2
	ds_write2_b32 v38, v1, v9 offset0:20 offset1:30
	v_fma_f16 v1, v59, s8, v2
	v_fma_f16 v60, v61, s4, v60
	;; [unrolled: 1-line block ×17, first 2 shown]
	v_mul_f16_e32 v19, 0x3a79, v9
	v_fma_f16 v19, v18, s4, -v19
	v_mul_f16_e32 v18, 0x3a79, v18
	v_fma_f16 v9, v9, s7, -v18
	v_add_f16_e32 v20, v1, v19
	v_add_f16_e32 v21, v2, v9
	v_sub_f16_e32 v3, v3, v7
	v_sub_f16_e32 v1, v1, v19
	;; [unrolled: 1-line block ×4, first 2 shown]
	v_pack_b32_f16 v0, v3, v0
	v_pack_b32_f16 v1, v1, v2
	s_movk_i32 s4, 0x64
	ds_write2_b32 v38, v0, v1 offset0:80 offset1:90
	v_add_u32_e32 v0, 0xffffff9c, v14
	v_cmp_gt_u32_e32 vcc, s4, v14
	v_sub_f16_e32 v8, v8, v54
	v_sub_f16_e32 v18, v39, v57
	v_cndmask_b32_e32 v43, v0, v14, vcc
	v_pack_b32_f16 v8, v8, v18
	v_mul_i32_i24_e32 v18, 5, v43
	v_mov_b32_e32 v19, 0
	v_lshlrev_b64 v[0:1], 2, v[18:19]
	v_pack_b32_f16 v20, v20, v21
	v_add_f16_e32 v66, v60, v56
	v_add_f16_e32 v67, v64, v50
	ds_write2_b32 v38, v20, v8 offset0:40 offset1:50
	v_sub_f16_e32 v8, v60, v56
	v_sub_f16_e32 v6, v47, v6
	;; [unrolled: 1-line block ×4, first 2 shown]
	v_mov_b32_e32 v18, s13
	v_add_co_u32_e32 v52, vcc, s12, v0
	v_pack_b32_f16 v66, v66, v67
	v_pack_b32_f16 v5, v8, v7
	;; [unrolled: 1-line block ×3, first 2 shown]
	v_addc_co_u32_e32 v53, vcc, v18, v1, vcc
	ds_write2_b32 v38, v58, v66 offset1:10
	ds_write2_b32 v38, v5, v4 offset0:60 offset1:70
	s_waitcnt lgkmcnt(0)
	s_barrier
	global_load_dwordx4 v[48:51], v[52:53], off offset:360
	v_mov_b32_e32 v0, 41
	v_mul_lo_u16_sdwa v0, v11, v0 dst_sel:DWORD dst_unused:UNUSED_PAD src0_sel:BYTE_0 src1_sel:DWORD
	v_lshrrev_b16_e32 v41, 12, v0
	v_mul_lo_u16_e32 v0, 0x64, v41
	v_sub_u16_e32 v42, v11, v0
	v_mov_b32_e32 v0, 5
	v_mul_u32_u24_sdwa v0, v42, v0 dst_sel:DWORD dst_unused:UNUSED_PAD src0_sel:BYTE_0 src1_sel:DWORD
	v_lshlrev_b32_e32 v45, 2, v0
	global_load_dwordx4 v[0:3], v45, s[12:13] offset:360
	v_lshrrev_b16_e32 v4, 2, v36
	v_mul_u32_u24_e32 v4, 0x147b, v4
	v_lshrrev_b32_e32 v38, 17, v4
	v_mul_lo_u16_e32 v4, 0x64, v38
	v_sub_u16_e32 v39, v36, v4
	v_mul_u32_u24_e32 v4, 5, v39
	v_lshlrev_b32_e32 v46, 2, v4
	global_load_dwordx4 v[4:7], v46, s[12:13] offset:360
	v_add_u16_e32 v8, 0x168, v14
	v_lshrrev_b16_e32 v9, 2, v8
	v_mul_u32_u24_e32 v9, 0x147b, v9
	v_lshrrev_b32_e32 v36, 17, v9
	v_mul_lo_u16_e32 v9, 0x64, v36
	ds_read2_b32 v[20:21], v28 offset0:96 offset1:216
	v_sub_u16_e32 v40, v8, v9
	v_mul_u32_u24_e32 v8, 5, v40
	ds_read2_b32 v[55:56], v30 offset0:48 offset1:168
	v_lshlrev_b32_e32 v47, 2, v8
	global_load_dwordx4 v[8:11], v47, s[12:13] offset:360
	s_waitcnt lgkmcnt(1)
	v_lshrrev_b32_e32 v44, 16, v21
	global_load_dword v59, v[52:53], off offset:376
	ds_read2_b32 v[57:58], v31 offset0:16 offset1:136
	ds_read_u16 v63, v22 offset:7202
	global_load_dword v45, v45, s[12:13] offset:376
	s_mov_b32 s4, 0xbaee
	global_load_dword v46, v46, s[12:13] offset:376
	s_movk_i32 s5, 0x3aee
	global_load_dword v47, v47, s[12:13] offset:376
	s_movk_i32 s6, 0x63
	v_cmp_lt_u32_e32 vcc, s6, v14
	v_lshlrev_b32_sdwa v37, v37, v42 dst_sel:DWORD dst_unused:UNUSED_PAD src0_sel:DWORD src1_sel:BYTE_0
	v_mul_u32_u24_e32 v41, 0x960, v41
	v_add3_u32 v37, 0, v41, v37
	v_mul_u32_u24_e32 v38, 0x960, v38
	v_lshlrev_b32_e32 v39, 2, v39
	v_add3_u32 v38, 0, v38, v39
	v_mul_u32_u24_e32 v36, 0x960, v36
	s_movk_i32 s6, 0x960
	s_waitcnt vmcnt(7)
	v_mul_f16_sdwa v52, v48, v21 dst_sel:DWORD dst_unused:UNUSED_PAD src0_sel:WORD_1 src1_sel:DWORD
	v_fma_f16 v60, v48, v44, v52
	v_mul_f16_sdwa v44, v48, v44 dst_sel:DWORD dst_unused:UNUSED_PAD src0_sel:WORD_1 src1_sel:DWORD
	v_fma_f16 v61, v48, v21, -v44
	s_waitcnt lgkmcnt(2)
	v_lshrrev_b32_e32 v21, 16, v55
	v_mul_f16_sdwa v44, v49, v55 dst_sel:DWORD dst_unused:UNUSED_PAD src0_sel:WORD_1 src1_sel:DWORD
	v_fma_f16 v62, v49, v21, v44
	v_mul_f16_sdwa v21, v49, v21 dst_sel:DWORD dst_unused:UNUSED_PAD src0_sel:WORD_1 src1_sel:DWORD
	v_add_u16_e32 v44, 0x1e0, v14
	v_fma_f16 v64, v49, v55, -v21
	v_lshrrev_b16_e32 v21, 2, v44
	v_mul_u32_u24_e32 v21, 0x147b, v21
	v_lshrrev_b32_e32 v21, 17, v21
	v_mul_lo_u16_e32 v52, 0x64, v21
	v_sub_u16_e32 v44, v44, v52
	v_mul_u32_u24_e32 v52, 5, v44
	v_lshlrev_b32_e32 v66, 2, v52
	global_load_dwordx4 v[52:55], v66, s[12:13] offset:360
	ds_read2_b32 v[48:49], v35 offset0:96 offset1:216
	s_waitcnt lgkmcnt(2)
	v_mul_f16_sdwa v65, v50, v58 dst_sel:DWORD dst_unused:UNUSED_PAD src0_sel:WORD_1 src1_sel:DWORD
	s_waitcnt lgkmcnt(1)
	v_fma_f16 v65, v63, v50, v65
	v_mul_f16_sdwa v63, v63, v50 dst_sel:DWORD dst_unused:UNUSED_PAD src0_sel:DWORD src1_sel:WORD_1
	v_fma_f16 v58, v50, v58, -v63
	s_waitcnt lgkmcnt(0)
	v_lshrrev_b32_e32 v50, 16, v48
	v_mul_f16_sdwa v63, v48, v51 dst_sel:DWORD dst_unused:UNUSED_PAD src0_sel:DWORD src1_sel:WORD_1
	v_fma_f16 v63, v50, v51, v63
	v_mul_f16_sdwa v50, v50, v51 dst_sel:DWORD dst_unused:UNUSED_PAD src0_sel:DWORD src1_sel:WORD_1
	v_fma_f16 v67, v48, v51, -v50
	v_lshrrev_b32_e32 v48, 16, v56
	s_waitcnt vmcnt(7)
	v_mul_f16_sdwa v50, v48, v1 dst_sel:DWORD dst_unused:UNUSED_PAD src0_sel:DWORD src1_sel:WORD_1
	v_fma_f16 v68, v56, v1, -v50
	v_mul_f16_sdwa v50, v56, v1 dst_sel:DWORD dst_unused:UNUSED_PAD src0_sel:DWORD src1_sel:WORD_1
	v_fma_f16 v56, v48, v1, v50
	v_lshrrev_b32_e32 v1, 16, v49
	ds_read2_b32 v[50:51], v25 offset0:80 offset1:200
	v_mul_f16_sdwa v48, v1, v3 dst_sel:DWORD dst_unused:UNUSED_PAD src0_sel:DWORD src1_sel:WORD_1
	v_fma_f16 v69, v49, v3, -v48
	v_mul_f16_sdwa v48, v49, v3 dst_sel:DWORD dst_unused:UNUSED_PAD src0_sel:DWORD src1_sel:WORD_1
	v_fma_f16 v70, v1, v3, v48
	ds_read2_b32 v[48:49], v29 offset0:128 offset1:248
	s_waitcnt lgkmcnt(1)
	v_lshrrev_b32_e32 v1, 16, v50
	v_mul_f16_sdwa v3, v50, v0 dst_sel:DWORD dst_unused:UNUSED_PAD src0_sel:DWORD src1_sel:WORD_1
	v_fma_f16 v71, v1, v0, v3
	v_mul_f16_sdwa v1, v1, v0 dst_sel:DWORD dst_unused:UNUSED_PAD src0_sel:DWORD src1_sel:WORD_1
	v_fma_f16 v50, v50, v0, -v1
	s_waitcnt lgkmcnt(0)
	v_lshrrev_b32_e32 v0, 16, v48
	v_mul_f16_sdwa v1, v48, v2 dst_sel:DWORD dst_unused:UNUSED_PAD src0_sel:DWORD src1_sel:WORD_1
	v_fma_f16 v72, v0, v2, v1
	v_mul_f16_sdwa v0, v0, v2 dst_sel:DWORD dst_unused:UNUSED_PAD src0_sel:DWORD src1_sel:WORD_1
	v_fma_f16 v48, v48, v2, -v0
	v_lshrrev_b32_e32 v0, 16, v51
	s_waitcnt vmcnt(6)
	v_mul_f16_sdwa v1, v0, v4 dst_sel:DWORD dst_unused:UNUSED_PAD src0_sel:DWORD src1_sel:WORD_1
	v_fma_f16 v73, v51, v4, -v1
	v_mul_f16_sdwa v1, v51, v4 dst_sel:DWORD dst_unused:UNUSED_PAD src0_sel:DWORD src1_sel:WORD_1
	v_lshrrev_b32_e32 v2, 16, v49
	v_fma_f16 v51, v0, v4, v1
	ds_read2_b32 v[0:1], v24 offset0:32 offset1:152
	v_mul_f16_sdwa v3, v2, v6 dst_sel:DWORD dst_unused:UNUSED_PAD src0_sel:DWORD src1_sel:WORD_1
	v_fma_f16 v74, v49, v6, -v3
	v_mul_f16_sdwa v3, v49, v6 dst_sel:DWORD dst_unused:UNUSED_PAD src0_sel:DWORD src1_sel:WORD_1
	v_fma_f16 v49, v2, v6, v3
	ds_read2_b32 v[2:3], v27 offset0:80 offset1:200
	s_waitcnt lgkmcnt(1)
	v_lshrrev_b32_e32 v4, 16, v0
	v_mul_f16_sdwa v6, v0, v5 dst_sel:DWORD dst_unused:UNUSED_PAD src0_sel:DWORD src1_sel:WORD_1
	v_fma_f16 v75, v4, v5, v6
	v_mul_f16_sdwa v4, v4, v5 dst_sel:DWORD dst_unused:UNUSED_PAD src0_sel:DWORD src1_sel:WORD_1
	v_fma_f16 v76, v0, v5, -v4
	s_waitcnt lgkmcnt(0)
	v_lshrrev_b32_e32 v0, 16, v2
	v_mul_f16_sdwa v4, v2, v7 dst_sel:DWORD dst_unused:UNUSED_PAD src0_sel:DWORD src1_sel:WORD_1
	v_fma_f16 v77, v0, v7, v4
	v_mul_f16_sdwa v0, v0, v7 dst_sel:DWORD dst_unused:UNUSED_PAD src0_sel:DWORD src1_sel:WORD_1
	v_fma_f16 v78, v2, v7, -v0
	v_lshrrev_b32_e32 v0, 16, v1
	s_waitcnt vmcnt(5)
	v_mul_f16_sdwa v2, v0, v9 dst_sel:DWORD dst_unused:UNUSED_PAD src0_sel:DWORD src1_sel:WORD_1
	v_fma_f16 v79, v1, v9, -v2
	v_mul_f16_sdwa v1, v1, v9 dst_sel:DWORD dst_unused:UNUSED_PAD src0_sel:DWORD src1_sel:WORD_1
	v_lshrrev_b32_e32 v2, 16, v3
	v_fma_f16 v9, v0, v9, v1
	ds_read2_b32 v[0:1], v32 offset0:64 offset1:184
	v_mul_f16_sdwa v4, v2, v11 dst_sel:DWORD dst_unused:UNUSED_PAD src0_sel:DWORD src1_sel:WORD_1
	v_fma_f16 v80, v3, v11, -v4
	v_mul_f16_sdwa v3, v3, v11 dst_sel:DWORD dst_unused:UNUSED_PAD src0_sel:DWORD src1_sel:WORD_1
	v_fma_f16 v11, v2, v11, v3
	ds_read2_b32 v[2:3], v15 offset0:112 offset1:232
	s_waitcnt lgkmcnt(1)
	v_lshrrev_b32_e32 v4, 16, v0
	v_mul_f16_sdwa v5, v0, v8 dst_sel:DWORD dst_unused:UNUSED_PAD src0_sel:DWORD src1_sel:WORD_1
	v_fma_f16 v81, v4, v8, v5
	v_mul_f16_sdwa v4, v4, v8 dst_sel:DWORD dst_unused:UNUSED_PAD src0_sel:DWORD src1_sel:WORD_1
	v_fma_f16 v8, v0, v8, -v4
	s_waitcnt lgkmcnt(0)
	v_lshrrev_b32_e32 v0, 16, v2
	v_mul_f16_sdwa v4, v2, v10 dst_sel:DWORD dst_unused:UNUSED_PAD src0_sel:DWORD src1_sel:WORD_1
	v_fma_f16 v82, v0, v10, v4
	v_mul_f16_sdwa v0, v0, v10 dst_sel:DWORD dst_unused:UNUSED_PAD src0_sel:DWORD src1_sel:WORD_1
	v_fma_f16 v10, v2, v10, -v0
	v_lshrrev_b32_e32 v0, 16, v1
	global_load_dword v66, v66, s[12:13] offset:376
	v_sub_f16_e32 v86, v62, v63
	s_waitcnt vmcnt(1)
	v_mul_f16_sdwa v2, v0, v52 dst_sel:DWORD dst_unused:UNUSED_PAD src0_sel:DWORD src1_sel:WORD_1
	v_fma_f16 v83, v1, v52, -v2
	v_mul_f16_sdwa v1, v1, v52 dst_sel:DWORD dst_unused:UNUSED_PAD src0_sel:DWORD src1_sel:WORD_1
	v_fma_f16 v52, v0, v52, v1
	v_lshrrev_b32_e32 v0, 16, v57
	v_mul_f16_sdwa v1, v0, v53 dst_sel:DWORD dst_unused:UNUSED_PAD src0_sel:DWORD src1_sel:WORD_1
	v_fma_f16 v84, v57, v53, -v1
	v_mul_f16_sdwa v1, v57, v53 dst_sel:DWORD dst_unused:UNUSED_PAD src0_sel:DWORD src1_sel:WORD_1
	v_fma_f16 v53, v0, v53, v1
	ds_read2_b32 v[0:1], v23 offset0:64 offset1:184
	v_lshrrev_b32_e32 v2, 16, v3
	v_mul_f16_sdwa v4, v2, v54 dst_sel:DWORD dst_unused:UNUSED_PAD src0_sel:DWORD src1_sel:WORD_1
	v_fma_f16 v57, v3, v54, -v4
	v_mul_f16_sdwa v3, v3, v54 dst_sel:DWORD dst_unused:UNUSED_PAD src0_sel:DWORD src1_sel:WORD_1
	v_fma_f16 v54, v2, v54, v3
	s_waitcnt lgkmcnt(0)
	v_lshrrev_b32_e32 v2, 16, v0
	v_mul_f16_sdwa v3, v0, v55 dst_sel:DWORD dst_unused:UNUSED_PAD src0_sel:DWORD src1_sel:WORD_1
	v_fma_f16 v85, v2, v55, v3
	v_mul_f16_sdwa v2, v2, v55 dst_sel:DWORD dst_unused:UNUSED_PAD src0_sel:DWORD src1_sel:WORD_1
	v_fma_f16 v55, v0, v55, -v2
	ds_read2_b32 v[2:3], v22 offset1:120
	v_lshrrev_b32_e32 v0, 16, v1
	v_mul_f16_sdwa v4, v0, v59 dst_sel:DWORD dst_unused:UNUSED_PAD src0_sel:DWORD src1_sel:WORD_1
	v_fma_f16 v4, v1, v59, -v4
	v_mul_f16_sdwa v1, v1, v59 dst_sel:DWORD dst_unused:UNUSED_PAD src0_sel:DWORD src1_sel:WORD_1
	v_fma_f16 v0, v0, v59, v1
	s_waitcnt lgkmcnt(0)
	v_lshrrev_b32_e32 v1, 16, v2
	v_add_f16_e32 v5, v1, v62
	v_add_f16_e32 v59, v5, v63
	;; [unrolled: 1-line block ×3, first 2 shown]
	v_fma_f16 v62, v5, -0.5, v1
	v_add_f16_e32 v1, v2, v64
	v_add_f16_e32 v5, v60, v65
	;; [unrolled: 1-line block ×4, first 2 shown]
	v_sub_f16_e32 v64, v64, v67
	v_add_f16_e32 v67, v5, v0
	v_sub_f16_e32 v87, v65, v0
	v_add_f16_e32 v0, v65, v0
	v_fma_f16 v60, v0, -0.5, v60
	v_add_f16_e32 v0, v58, v4
	v_fma_f16 v65, v0, -0.5, v61
	v_add_f16_e32 v0, v61, v58
	v_add_f16_e32 v61, v0, v4
	v_sub_f16_e32 v58, v58, v4
	v_fma_f16 v0, v87, s4, v65
	v_fma_f16 v4, v58, s5, v60
	v_mul_f16_e32 v5, -0.5, v0
	v_fma_f16 v88, v4, s5, v5
	v_mul_f16_e32 v4, -0.5, v4
	v_fma_f16 v89, v0, s4, v4
	v_mov_b32_e32 v0, 0x960
	v_fma_f16 v2, v1, -0.5, v2
	v_cndmask_b32_e32 v0, 0, v0, vcc
	v_lshlrev_b32_e32 v4, 2, v43
	v_fma_f16 v90, v86, s4, v2
	v_fma_f16 v91, v64, s5, v62
	v_add3_u32 v43, 0, v0, v4
	v_add_f16_e32 v0, v90, v88
	v_add_f16_e32 v1, v91, v89
	v_fma_f16 v62, v64, s4, v62
	v_fma_f16 v64, v87, s5, v65
	;; [unrolled: 1-line block ×3, first 2 shown]
	v_pack_b32_f16 v92, v0, v1
	v_sub_f16_e32 v0, v63, v61
	v_add_f16_e32 v60, v63, v61
	v_mul_f16_e32 v61, 0x3aee, v58
	v_mul_f16_e32 v63, 0xbaee, v64
	v_sub_f16_e32 v1, v59, v67
	v_fma_f16 v2, v86, s5, v2
	v_add_f16_e32 v59, v59, v67
	v_fma_f16 v61, v64, 0.5, v61
	v_fma_f16 v58, v58, 0.5, v63
	v_pack_b32_f16 v59, v60, v59
	v_add_f16_e32 v60, v2, v61
	v_add_f16_e32 v63, v62, v58
	v_pack_b32_f16 v93, v0, v1
	ds_read2_b32 v[0:1], v34 offset0:48 offset1:168
	ds_read2_b32 v[4:5], v33 offset0:112 offset1:232
	;; [unrolled: 1-line block ×3, first 2 shown]
	v_pack_b32_f16 v60, v60, v63
	s_waitcnt vmcnt(0) lgkmcnt(0)
	s_barrier
	ds_write2_b32 v43, v59, v60 offset1:100
	v_sub_f16_e32 v2, v2, v61
	v_sub_f16_e32 v59, v90, v88
	;; [unrolled: 1-line block ×4, first 2 shown]
	v_add_u32_e32 v94, 0x200, v43
	v_pack_b32_f16 v2, v2, v58
	v_pack_b32_f16 v58, v59, v60
	v_add_u32_e32 v43, 0x400, v43
	ds_write2_b32 v43, v2, v58 offset0:144 offset1:244
	v_lshrrev_b32_e32 v2, 16, v0
	v_mul_f16_sdwa v43, v0, v45 dst_sel:DWORD dst_unused:UNUSED_PAD src0_sel:DWORD src1_sel:WORD_1
	v_fma_f16 v43, v2, v45, v43
	v_mul_f16_sdwa v2, v2, v45 dst_sel:DWORD dst_unused:UNUSED_PAD src0_sel:DWORD src1_sel:WORD_1
	v_fma_f16 v0, v0, v45, -v2
	v_add_f16_e32 v60, v71, v72
	v_add_f16_e32 v62, v48, v0
	;; [unrolled: 1-line block ×3, first 2 shown]
	v_sub_f16_e32 v61, v72, v43
	v_add_f16_e32 v43, v72, v43
	v_fma_f16 v62, v62, -0.5, v50
	v_add_f16_e32 v50, v50, v48
	v_lshrrev_b32_e32 v45, 16, v3
	v_fma_f16 v43, v43, -0.5, v71
	v_add_f16_e32 v50, v50, v0
	v_sub_f16_e32 v0, v48, v0
	v_fma_f16 v48, v61, s4, v62
	v_add_f16_e32 v2, v68, v69
	v_add_f16_e32 v58, v45, v56
	v_sub_f16_e32 v59, v56, v70
	v_add_f16_e32 v56, v56, v70
	v_fma_f16 v63, v0, s5, v43
	v_mul_f16_e32 v64, -0.5, v48
	v_fma_f16 v2, v2, -0.5, v3
	v_fma_f16 v45, v56, -0.5, v45
	v_sub_f16_e32 v56, v68, v69
	v_fma_f16 v64, v63, s5, v64
	v_mul_f16_e32 v63, -0.5, v63
	v_add_f16_e32 v3, v3, v68
	v_fma_f16 v48, v48, s4, v63
	v_fma_f16 v41, v59, s4, v2
	;; [unrolled: 1-line block ×3, first 2 shown]
	v_add_f16_e32 v3, v3, v69
	v_add_f16_e32 v63, v41, v64
	;; [unrolled: 1-line block ×3, first 2 shown]
	v_fma_f16 v0, v0, s4, v43
	v_pack_b32_f16 v63, v63, v65
	v_sub_f16_e32 v65, v3, v50
	v_fma_f16 v45, v56, s4, v45
	v_fma_f16 v56, v61, s5, v62
	v_add_f16_e32 v3, v3, v50
	v_mul_f16_e32 v50, 0x3aee, v0
	v_add_f16_e32 v58, v58, v70
	v_fma_f16 v50, v56, 0.5, v50
	v_mul_f16_e32 v56, 0xbaee, v56
	v_fma_f16 v2, v59, s5, v2
	v_add_f16_e32 v43, v58, v60
	v_fma_f16 v0, v0, 0.5, v56
	v_pack_b32_f16 v3, v3, v43
	v_add_f16_e32 v43, v2, v50
	v_add_f16_e32 v56, v45, v0
	v_pack_b32_f16 v43, v43, v56
	ds_write2_b32 v94, v92, v93 offset0:72 offset1:172
	ds_write2_b32 v37, v3, v43 offset1:100
	v_sub_f16_e32 v2, v2, v50
	v_sub_f16_e32 v3, v41, v64
	;; [unrolled: 1-line block ×4, first 2 shown]
	v_pack_b32_f16 v0, v2, v0
	v_pack_b32_f16 v2, v3, v41
	v_add_u32_e32 v3, 0x400, v37
	ds_write2_b32 v3, v0, v2 offset0:144 offset1:244
	v_lshrrev_b32_e32 v0, 16, v1
	v_mul_f16_sdwa v2, v0, v46 dst_sel:DWORD dst_unused:UNUSED_PAD src0_sel:DWORD src1_sel:WORD_1
	v_fma_f16 v2, v1, v46, -v2
	v_mul_f16_sdwa v1, v1, v46 dst_sel:DWORD dst_unused:UNUSED_PAD src0_sel:DWORD src1_sel:WORD_1
	v_fma_f16 v0, v0, v46, v1
	v_add_f16_e32 v45, v51, v49
	v_add_f16_e32 v48, v74, v2
	;; [unrolled: 1-line block ×3, first 2 shown]
	v_sub_f16_e32 v46, v49, v0
	v_add_f16_e32 v0, v49, v0
	v_fma_f16 v48, v48, -0.5, v73
	v_add_f16_e32 v49, v73, v74
	v_fma_f16 v0, v0, -0.5, v51
	v_add_f16_e32 v49, v49, v2
	v_sub_f16_e32 v2, v74, v2
	v_fma_f16 v50, v46, s4, v48
	v_sub_f16_e32 v67, v58, v60
	v_lshrrev_b32_e32 v1, 16, v4
	v_add_f16_e32 v41, v75, v77
	v_add_f16_e32 v42, v76, v78
	v_fma_f16 v51, v2, s5, v0
	v_mul_f16_e32 v56, -0.5, v50
	v_pack_b32_f16 v65, v65, v67
	v_add_u32_e32 v67, 0x200, v37
	v_add_f16_e32 v3, v1, v75
	v_sub_f16_e32 v37, v75, v77
	v_fma_f16 v1, v41, -0.5, v1
	v_add_f16_e32 v41, v4, v76
	v_sub_f16_e32 v43, v76, v78
	v_fma_f16 v56, v51, s5, v56
	v_mul_f16_e32 v51, -0.5, v51
	v_fma_f16 v4, v42, -0.5, v4
	v_fma_f16 v50, v50, s4, v51
	v_fma_f16 v39, v37, s4, v4
	;; [unrolled: 1-line block ×3, first 2 shown]
	v_add_f16_e32 v41, v41, v78
	v_add_f16_e32 v51, v39, v56
	;; [unrolled: 1-line block ×3, first 2 shown]
	v_fma_f16 v0, v2, s4, v0
	v_pack_b32_f16 v51, v51, v58
	v_sub_f16_e32 v58, v41, v49
	v_fma_f16 v4, v37, s5, v4
	v_fma_f16 v37, v46, s5, v48
	v_add_f16_e32 v2, v41, v49
	v_mul_f16_e32 v41, 0x3aee, v0
	v_add_f16_e32 v3, v3, v77
	v_fma_f16 v41, v37, 0.5, v41
	v_mul_f16_e32 v37, 0xbaee, v37
	v_sub_f16_e32 v59, v3, v45
	v_fma_f16 v1, v43, s4, v1
	v_add_f16_e32 v3, v3, v45
	v_fma_f16 v0, v0, 0.5, v37
	v_pack_b32_f16 v2, v2, v3
	v_add_f16_e32 v3, v4, v41
	v_add_f16_e32 v37, v1, v0
	v_pack_b32_f16 v3, v3, v37
	ds_write2_b32 v67, v63, v65 offset0:72 offset1:172
	ds_write2_b32 v38, v2, v3 offset1:100
	v_sub_f16_e32 v2, v4, v41
	v_sub_f16_e32 v3, v39, v56
	;; [unrolled: 1-line block ×4, first 2 shown]
	v_pack_b32_f16 v0, v2, v0
	v_pack_b32_f16 v1, v3, v1
	v_add_u32_e32 v2, 0x400, v38
	ds_write2_b32 v2, v0, v1 offset0:144 offset1:244
	v_lshrrev_b32_e32 v0, 16, v6
	v_mul_f16_sdwa v1, v6, v47 dst_sel:DWORD dst_unused:UNUSED_PAD src0_sel:DWORD src1_sel:WORD_1
	v_fma_f16 v1, v0, v47, v1
	v_mul_f16_sdwa v0, v0, v47 dst_sel:DWORD dst_unused:UNUSED_PAD src0_sel:DWORD src1_sel:WORD_1
	v_add_f16_e32 v2, v79, v80
	v_lshrrev_b32_e32 v3, 16, v5
	v_fma_f16 v0, v6, v47, -v0
	v_fma_f16 v2, v2, -0.5, v5
	v_add_f16_e32 v4, v5, v79
	v_add_f16_e32 v5, v3, v9
	v_pack_b32_f16 v58, v58, v59
	v_add_u32_e32 v59, 0x200, v38
	v_add_f16_e32 v5, v5, v11
	v_sub_f16_e32 v6, v9, v11
	v_add_f16_e32 v9, v9, v11
	v_add_f16_e32 v11, v81, v82
	;; [unrolled: 1-line block ×4, first 2 shown]
	v_sub_f16_e32 v37, v82, v1
	v_add_f16_e32 v1, v82, v1
	v_fma_f16 v38, v38, -0.5, v8
	v_add_f16_e32 v8, v8, v10
	v_fma_f16 v1, v1, -0.5, v81
	v_add_f16_e32 v8, v8, v0
	v_sub_f16_e32 v0, v10, v0
	v_fma_f16 v10, v37, s4, v38
	v_fma_f16 v39, v0, s5, v1
	v_mul_f16_e32 v41, -0.5, v10
	v_fma_f16 v41, v39, s5, v41
	v_mul_f16_e32 v39, -0.5, v39
	v_fma_f16 v3, v9, -0.5, v3
	v_sub_f16_e32 v9, v79, v80
	v_fma_f16 v10, v10, s4, v39
	v_lshlrev_b32_e32 v39, 2, v40
	v_add3_u32 v36, 0, v36, v39
	v_fma_f16 v39, v6, s4, v2
	v_fma_f16 v40, v9, s5, v3
	v_add_f16_e32 v4, v4, v80
	v_add_f16_e32 v42, v39, v41
	;; [unrolled: 1-line block ×3, first 2 shown]
	v_fma_f16 v0, v0, s4, v1
	v_pack_b32_f16 v42, v42, v43
	v_sub_f16_e32 v43, v4, v8
	v_sub_f16_e32 v45, v5, v11
	v_fma_f16 v2, v6, s5, v2
	v_fma_f16 v6, v37, s5, v38
	v_add_f16_e32 v1, v4, v8
	v_add_f16_e32 v4, v5, v11
	v_mul_f16_e32 v5, 0x3aee, v0
	v_fma_f16 v5, v6, 0.5, v5
	v_mul_f16_e32 v6, 0xbaee, v6
	v_fma_f16 v3, v9, s4, v3
	v_fma_f16 v0, v0, 0.5, v6
	v_pack_b32_f16 v1, v1, v4
	v_add_f16_e32 v4, v2, v5
	v_add_f16_e32 v6, v3, v0
	v_pack_b32_f16 v4, v4, v6
	ds_write2_b32 v59, v51, v58 offset0:72 offset1:172
	ds_write2_b32 v36, v1, v4 offset1:100
	v_sub_f16_e32 v1, v2, v5
	v_sub_f16_e32 v2, v39, v41
	v_sub_f16_e32 v0, v3, v0
	v_sub_f16_e32 v3, v40, v10
	v_pack_b32_f16 v0, v1, v0
	v_pack_b32_f16 v1, v2, v3
	v_add_u32_e32 v2, 0x400, v36
	ds_write2_b32 v2, v0, v1 offset0:144 offset1:244
	v_lshrrev_b32_e32 v0, 16, v7
	v_mul_f16_sdwa v2, v7, v66 dst_sel:DWORD dst_unused:UNUSED_PAD src0_sel:DWORD src1_sel:WORD_1
	v_mul_f16_sdwa v1, v0, v66 dst_sel:DWORD dst_unused:UNUSED_PAD src0_sel:DWORD src1_sel:WORD_1
	v_fma_f16 v0, v0, v66, v2
	v_add_f16_e32 v8, v52, v54
	v_fma_f16 v1, v7, v66, -v1
	v_add_f16_e32 v8, v8, v0
	v_sub_f16_e32 v9, v54, v0
	v_add_f16_e32 v0, v54, v0
	v_add_f16_e32 v11, v83, v57
	v_fma_f16 v0, v0, -0.5, v52
	v_add_f16_e32 v10, v57, v1
	v_add_f16_e32 v11, v11, v1
	v_sub_f16_e32 v1, v57, v1
	v_pack_b32_f16 v43, v43, v45
	v_add_u32_e32 v45, 0x200, v36
	v_add_f16_e32 v2, v84, v55
	v_fma_f16 v10, v10, -0.5, v83
	v_fma_f16 v36, v1, s4, v0
	v_fma_f16 v2, v2, -0.5, v20
	v_lshrrev_b32_e32 v3, 16, v20
	v_add_f16_e32 v4, v20, v84
	v_fma_f16 v20, v9, s5, v10
	v_mul_f16_e32 v37, 0x3aee, v36
	v_add_f16_e32 v5, v3, v53
	v_fma_f16 v37, v20, 0.5, v37
	v_mul_f16_e32 v20, 0xbaee, v20
	v_add_f16_e32 v5, v5, v85
	v_add_f16_e32 v4, v4, v55
	v_fma_f16 v20, v36, 0.5, v20
	v_mul_u32_u24_e32 v21, 0x960, v21
	v_lshlrev_b32_e32 v36, 2, v44
	v_sub_f16_e32 v6, v53, v85
	v_add3_u32 v21, 0, v21, v36
	v_add_f16_e32 v36, v4, v11
	v_add_f16_e32 v38, v5, v8
	v_pack_b32_f16 v36, v36, v38
	v_fma_f16 v38, v6, s5, v2
	v_fma_f16 v2, v6, s4, v2
	;; [unrolled: 1-line block ×3, first 2 shown]
	v_add_f16_e32 v7, v53, v85
	v_fma_f16 v0, v1, s5, v0
	v_mul_f16_e32 v1, -0.5, v6
	v_fma_f16 v3, v7, -0.5, v3
	v_sub_f16_e32 v7, v84, v55
	v_fma_f16 v1, v0, s5, v1
	v_mul_f16_e32 v0, -0.5, v0
	v_fma_f16 v39, v7, s4, v3
	v_fma_f16 v3, v7, s5, v3
	;; [unrolled: 1-line block ×3, first 2 shown]
	v_sub_f16_e32 v4, v4, v11
	v_add_f16_e32 v7, v2, v1
	v_sub_f16_e32 v1, v2, v1
	v_sub_f16_e32 v2, v5, v8
	v_add_f16_e32 v8, v3, v0
	v_sub_f16_e32 v6, v38, v37
	v_sub_f16_e32 v5, v39, v20
	;; [unrolled: 1-line block ×3, first 2 shown]
	v_pack_b32_f16 v3, v7, v8
	v_pack_b32_f16 v2, v4, v2
	v_add_u32_e32 v4, 0x200, v21
	ds_write2_b32 v45, v42, v43 offset0:72 offset1:172
	ds_write2_b32 v4, v3, v2 offset0:72 offset1:172
	v_pack_b32_f16 v2, v6, v5
	v_pack_b32_f16 v0, v1, v0
	v_add_u32_e32 v1, 0x400, v21
	v_add_f16_e32 v40, v38, v37
	v_add_f16_e32 v41, v39, v20
	ds_write2_b32 v1, v2, v0 offset0:144 offset1:244
	v_mul_u32_u24_e32 v0, 5, v14
	v_pack_b32_f16 v40, v40, v41
	v_lshlrev_b32_e32 v20, 2, v0
	ds_write2_b32 v21, v36, v40 offset1:100
	s_waitcnt lgkmcnt(0)
	s_barrier
	global_load_dwordx4 v[2:5], v20, s[12:13] offset:2360
	global_load_dword v57, v20, s[12:13] offset:2376
	v_add_co_u32_e32 v0, vcc, s12, v20
	v_addc_co_u32_e32 v1, vcc, 0, v18, vcc
	v_add_co_u32_e32 v10, vcc, s6, v0
	v_addc_co_u32_e32 v11, vcc, 0, v1, vcc
	global_load_dwordx4 v[6:9], v[10:11], off offset:2360
	s_movk_i32 s6, 0x12c0
	v_add_co_u32_e32 v49, vcc, s6, v0
	v_addc_co_u32_e32 v50, vcc, 0, v1, vcc
	global_load_dwordx4 v[37:40], v[49:50], off offset:2360
	s_movk_i32 s6, 0x1c20
	v_add_co_u32_e32 v51, vcc, s6, v0
	v_addc_co_u32_e32 v52, vcc, 0, v1, vcc
	global_load_dwordx4 v[41:44], v[51:52], off offset:2360
	v_add_u32_e32 v59, 0x2580, v20
	global_load_dwordx4 v[45:48], v59, s[12:13] offset:2360
	global_load_dword v63, v[10:11], off offset:2376
	global_load_dword v71, v[49:50], off offset:2376
	ds_read2_b32 v[0:1], v28 offset0:96 offset1:216
	ds_read2_b32 v[53:54], v30 offset0:48 offset1:168
	;; [unrolled: 1-line block ×4, first 2 shown]
	s_waitcnt lgkmcnt(3)
	v_lshrrev_b32_e32 v18, 16, v1
	s_waitcnt vmcnt(7)
	v_mul_f16_sdwa v21, v2, v1 dst_sel:DWORD dst_unused:UNUSED_PAD src0_sel:WORD_1 src1_sel:DWORD
	v_fma_f16 v21, v2, v18, v21
	v_mul_f16_sdwa v18, v2, v18 dst_sel:DWORD dst_unused:UNUSED_PAD src0_sel:WORD_1 src1_sel:DWORD
	v_fma_f16 v36, v2, v1, -v18
	s_waitcnt lgkmcnt(2)
	v_lshrrev_b32_e32 v1, 16, v53
	v_mul_f16_sdwa v2, v3, v53 dst_sel:DWORD dst_unused:UNUSED_PAD src0_sel:WORD_1 src1_sel:DWORD
	v_fma_f16 v58, v3, v1, v2
	v_mul_f16_sdwa v1, v3, v1 dst_sel:DWORD dst_unused:UNUSED_PAD src0_sel:WORD_1 src1_sel:DWORD
	v_fma_f16 v53, v3, v53, -v1
	ds_read2_b32 v[1:2], v35 offset0:96 offset1:216
	s_waitcnt lgkmcnt(2)
	v_lshrrev_b32_e32 v3, 16, v56
	v_mul_f16_sdwa v18, v4, v56 dst_sel:DWORD dst_unused:UNUSED_PAD src0_sel:WORD_1 src1_sel:DWORD
	v_fma_f16 v60, v4, v3, v18
	v_mul_f16_sdwa v3, v4, v3 dst_sel:DWORD dst_unused:UNUSED_PAD src0_sel:WORD_1 src1_sel:DWORD
	v_fma_f16 v56, v4, v56, -v3
	s_waitcnt lgkmcnt(0)
	v_lshrrev_b32_e32 v3, 16, v1
	v_mul_f16_sdwa v4, v1, v5 dst_sel:DWORD dst_unused:UNUSED_PAD src0_sel:DWORD src1_sel:WORD_1
	v_fma_f16 v61, v3, v5, v4
	v_mul_f16_sdwa v3, v3, v5 dst_sel:DWORD dst_unused:UNUSED_PAD src0_sel:DWORD src1_sel:WORD_1
	v_fma_f16 v62, v1, v5, -v3
	v_lshrrev_b32_e32 v1, 16, v54
	s_waitcnt vmcnt(5)
	v_mul_f16_sdwa v3, v1, v7 dst_sel:DWORD dst_unused:UNUSED_PAD src0_sel:DWORD src1_sel:WORD_1
	v_fma_f16 v64, v54, v7, -v3
	v_mul_f16_sdwa v3, v54, v7 dst_sel:DWORD dst_unused:UNUSED_PAD src0_sel:DWORD src1_sel:WORD_1
	v_fma_f16 v54, v1, v7, v3
	v_lshrrev_b32_e32 v1, 16, v2
	ds_read2_b32 v[3:4], v25 offset0:80 offset1:200
	v_mul_f16_sdwa v5, v1, v9 dst_sel:DWORD dst_unused:UNUSED_PAD src0_sel:DWORD src1_sel:WORD_1
	v_fma_f16 v65, v2, v9, -v5
	v_mul_f16_sdwa v2, v2, v9 dst_sel:DWORD dst_unused:UNUSED_PAD src0_sel:DWORD src1_sel:WORD_1
	v_fma_f16 v66, v1, v9, v2
	ds_read2_b32 v[1:2], v29 offset0:128 offset1:248
	s_waitcnt lgkmcnt(1)
	v_lshrrev_b32_e32 v5, 16, v3
	v_mul_f16_sdwa v7, v3, v6 dst_sel:DWORD dst_unused:UNUSED_PAD src0_sel:DWORD src1_sel:WORD_1
	v_fma_f16 v67, v5, v6, v7
	v_mul_f16_sdwa v5, v5, v6 dst_sel:DWORD dst_unused:UNUSED_PAD src0_sel:DWORD src1_sel:WORD_1
	v_fma_f16 v68, v3, v6, -v5
	s_waitcnt lgkmcnt(0)
	v_lshrrev_b32_e32 v3, 16, v1
	v_mul_f16_sdwa v5, v1, v8 dst_sel:DWORD dst_unused:UNUSED_PAD src0_sel:DWORD src1_sel:WORD_1
	v_fma_f16 v69, v3, v8, v5
	v_mul_f16_sdwa v3, v3, v8 dst_sel:DWORD dst_unused:UNUSED_PAD src0_sel:DWORD src1_sel:WORD_1
	v_fma_f16 v70, v1, v8, -v3
	v_lshrrev_b32_e32 v1, 16, v4
	global_load_dword v9, v[51:52], off offset:2376
	v_lshrrev_b32_e32 v7, 16, v49
	s_waitcnt vmcnt(4)
	v_mul_f16_sdwa v8, v49, v43 dst_sel:DWORD dst_unused:UNUSED_PAD src0_sel:DWORD src1_sel:WORD_1
	v_mul_f16_sdwa v3, v1, v37 dst_sel:DWORD dst_unused:UNUSED_PAD src0_sel:DWORD src1_sel:WORD_1
	v_fma_f16 v8, v7, v43, v8
	v_mul_f16_sdwa v7, v7, v43 dst_sel:DWORD dst_unused:UNUSED_PAD src0_sel:DWORD src1_sel:WORD_1
	v_fma_f16 v7, v49, v43, -v7
	global_load_dword v49, v59, s[12:13] offset:2376
	v_fma_f16 v10, v4, v37, -v3
	v_mul_f16_sdwa v3, v4, v37 dst_sel:DWORD dst_unused:UNUSED_PAD src0_sel:DWORD src1_sel:WORD_1
	v_fma_f16 v11, v1, v37, v3
	v_lshrrev_b32_e32 v1, 16, v2
	ds_read2_b32 v[3:4], v24 offset0:32 offset1:152
	v_mul_f16_sdwa v5, v1, v39 dst_sel:DWORD dst_unused:UNUSED_PAD src0_sel:DWORD src1_sel:WORD_1
	v_fma_f16 v18, v2, v39, -v5
	ds_read2_b32 v[5:6], v27 offset0:80 offset1:200
	v_mul_f16_sdwa v2, v2, v39 dst_sel:DWORD dst_unused:UNUSED_PAD src0_sel:DWORD src1_sel:WORD_1
	v_fma_f16 v20, v1, v39, v2
	s_waitcnt lgkmcnt(1)
	v_lshrrev_b32_e32 v1, 16, v3
	v_mul_f16_sdwa v2, v3, v38 dst_sel:DWORD dst_unused:UNUSED_PAD src0_sel:DWORD src1_sel:WORD_1
	v_fma_f16 v37, v1, v38, v2
	v_mul_f16_sdwa v1, v1, v38 dst_sel:DWORD dst_unused:UNUSED_PAD src0_sel:DWORD src1_sel:WORD_1
	v_fma_f16 v72, v3, v38, -v1
	s_waitcnt lgkmcnt(0)
	v_lshrrev_b32_e32 v1, 16, v5
	v_mul_f16_sdwa v2, v5, v40 dst_sel:DWORD dst_unused:UNUSED_PAD src0_sel:DWORD src1_sel:WORD_1
	ds_read2_b32 v[38:39], v32 offset0:64 offset1:184
	v_fma_f16 v73, v1, v40, v2
	v_mul_f16_sdwa v1, v1, v40 dst_sel:DWORD dst_unused:UNUSED_PAD src0_sel:DWORD src1_sel:WORD_1
	v_lshrrev_b32_e32 v2, 16, v4
	v_fma_f16 v74, v5, v40, -v1
	v_mul_f16_sdwa v1, v2, v42 dst_sel:DWORD dst_unused:UNUSED_PAD src0_sel:DWORD src1_sel:WORD_1
	v_fma_f16 v1, v4, v42, -v1
	v_mul_f16_sdwa v3, v4, v42 dst_sel:DWORD dst_unused:UNUSED_PAD src0_sel:DWORD src1_sel:WORD_1
	v_lshrrev_b32_e32 v4, 16, v6
	v_fma_f16 v2, v2, v42, v3
	v_mul_f16_sdwa v3, v4, v44 dst_sel:DWORD dst_unused:UNUSED_PAD src0_sel:DWORD src1_sel:WORD_1
	v_mul_f16_sdwa v5, v6, v44 dst_sel:DWORD dst_unused:UNUSED_PAD src0_sel:DWORD src1_sel:WORD_1
	v_fma_f16 v3, v6, v44, -v3
	v_fma_f16 v5, v4, v44, v5
	s_waitcnt lgkmcnt(0)
	v_lshrrev_b32_e32 v6, 16, v38
	v_mul_f16_sdwa v4, v38, v41 dst_sel:DWORD dst_unused:UNUSED_PAD src0_sel:DWORD src1_sel:WORD_1
	v_fma_f16 v4, v6, v41, v4
	v_mul_f16_sdwa v6, v6, v41 dst_sel:DWORD dst_unused:UNUSED_PAD src0_sel:DWORD src1_sel:WORD_1
	v_fma_f16 v6, v38, v41, -v6
	v_lshrrev_b32_e32 v38, 16, v39
	s_waitcnt vmcnt(4)
	v_mul_f16_sdwa v40, v38, v45 dst_sel:DWORD dst_unused:UNUSED_PAD src0_sel:DWORD src1_sel:WORD_1
	v_fma_f16 v51, v39, v45, -v40
	v_mul_f16_sdwa v39, v39, v45 dst_sel:DWORD dst_unused:UNUSED_PAD src0_sel:DWORD src1_sel:WORD_1
	v_fma_f16 v52, v38, v45, v39
	v_lshrrev_b32_e32 v38, 16, v55
	v_mul_f16_sdwa v39, v38, v46 dst_sel:DWORD dst_unused:UNUSED_PAD src0_sel:DWORD src1_sel:WORD_1
	v_fma_f16 v59, v55, v46, -v39
	v_mul_f16_sdwa v39, v55, v46 dst_sel:DWORD dst_unused:UNUSED_PAD src0_sel:DWORD src1_sel:WORD_1
	v_fma_f16 v46, v38, v46, v39
	ds_read2_b32 v[38:39], v23 offset0:64 offset1:184
	v_lshrrev_b32_e32 v40, 16, v50
	v_mul_f16_sdwa v41, v40, v47 dst_sel:DWORD dst_unused:UNUSED_PAD src0_sel:DWORD src1_sel:WORD_1
	v_fma_f16 v55, v50, v47, -v41
	v_mul_f16_sdwa v41, v50, v47 dst_sel:DWORD dst_unused:UNUSED_PAD src0_sel:DWORD src1_sel:WORD_1
	v_fma_f16 v47, v40, v47, v41
	s_waitcnt lgkmcnt(0)
	v_lshrrev_b32_e32 v40, 16, v38
	v_mul_f16_sdwa v41, v38, v48 dst_sel:DWORD dst_unused:UNUSED_PAD src0_sel:DWORD src1_sel:WORD_1
	v_fma_f16 v50, v40, v48, v41
	v_mul_f16_sdwa v40, v40, v48 dst_sel:DWORD dst_unused:UNUSED_PAD src0_sel:DWORD src1_sel:WORD_1
	v_fma_f16 v48, v38, v48, -v40
	v_lshrrev_b32_e32 v38, 16, v39
	ds_read2_b32 v[40:41], v34 offset0:48 offset1:168
	v_mul_f16_sdwa v42, v38, v57 dst_sel:DWORD dst_unused:UNUSED_PAD src0_sel:DWORD src1_sel:WORD_1
	v_fma_f16 v75, v39, v57, -v42
	v_mul_f16_sdwa v39, v39, v57 dst_sel:DWORD dst_unused:UNUSED_PAD src0_sel:DWORD src1_sel:WORD_1
	v_fma_f16 v57, v38, v57, v39
	ds_read2_b32 v[38:39], v22 offset1:120
	s_waitcnt lgkmcnt(1)
	v_lshrrev_b32_e32 v42, 16, v40
	s_waitcnt vmcnt(3)
	v_mul_f16_sdwa v43, v40, v63 dst_sel:DWORD dst_unused:UNUSED_PAD src0_sel:DWORD src1_sel:WORD_1
	v_fma_f16 v76, v42, v63, v43
	v_mul_f16_sdwa v42, v42, v63 dst_sel:DWORD dst_unused:UNUSED_PAD src0_sel:DWORD src1_sel:WORD_1
	v_fma_f16 v40, v40, v63, -v42
	s_waitcnt lgkmcnt(0)
	v_add_f16_e32 v42, v38, v53
	v_lshrrev_b32_e32 v77, 16, v38
	v_add_f16_e32 v63, v42, v62
	v_add_f16_e32 v42, v77, v58
	;; [unrolled: 1-line block ×9, first 2 shown]
	v_pack_b32_f16 v81, v42, v43
	v_add_f16_e32 v42, v39, v64
	v_lshrrev_b32_e32 v83, 16, v39
	v_add_f16_e32 v82, v42, v65
	v_add_f16_e32 v42, v83, v54
	;; [unrolled: 1-line block ×9, first 2 shown]
	v_pack_b32_f16 v87, v42, v43
	ds_read2_b32 v[42:43], v33 offset0:112 offset1:232
	ds_read2_b32 v[44:45], v26 offset0:32 offset1:152
	s_waitcnt vmcnt(0) lgkmcnt(0)
	s_barrier
	ds_write2_b32 v22, v81, v87 offset1:120
	v_add_f16_e32 v22, v53, v62
	v_fma_f16 v22, v22, -0.5, v38
	v_add_f16_e32 v38, v64, v65
	v_fma_f16 v38, v38, -0.5, v39
	v_sub_f16_e32 v39, v58, v61
	v_add_f16_e32 v58, v58, v61
	v_add_f16_e32 v61, v56, v75
	v_fma_f16 v36, v61, -0.5, v36
	v_sub_f16_e32 v61, v60, v57
	v_add_f16_e32 v57, v60, v57
	v_fma_f16 v21, v57, -0.5, v21
	v_sub_f16_e32 v56, v56, v75
	v_fma_f16 v57, v61, s4, v36
	v_sub_f16_e32 v53, v53, v62
	v_fma_f16 v60, v56, s5, v21
	v_mul_f16_e32 v62, -0.5, v57
	v_fma_f16 v62, v60, s5, v62
	v_mul_f16_e32 v60, -0.5, v60
	v_sub_f16_e32 v64, v64, v65
	v_add_f16_e32 v65, v70, v40
	v_fma_f16 v57, v57, s4, v60
	v_sub_f16_e32 v60, v54, v66
	v_add_f16_e32 v54, v54, v66
	v_fma_f16 v65, v65, -0.5, v68
	v_sub_f16_e32 v66, v69, v76
	v_add_f16_e32 v68, v69, v76
	v_fma_f16 v67, v68, -0.5, v67
	v_sub_f16_e32 v40, v70, v40
	v_fma_f16 v68, v66, s4, v65
	v_fma_f16 v69, v40, s5, v67
	v_mul_f16_e32 v70, -0.5, v68
	v_fma_f16 v58, v58, -0.5, v77
	v_fma_f16 v70, v69, s5, v70
	v_mul_f16_e32 v69, -0.5, v69
	v_fma_f16 v68, v68, s4, v69
	v_fma_f16 v69, v39, s4, v22
	;; [unrolled: 1-line block ×3, first 2 shown]
	v_fma_f16 v54, v54, -0.5, v83
	v_add_f16_e32 v76, v69, v62
	v_add_f16_e32 v77, v75, v57
	v_pack_b32_f16 v76, v76, v77
	v_fma_f16 v77, v60, s4, v38
	v_fma_f16 v81, v64, s5, v54
	;; [unrolled: 1-line block ×3, first 2 shown]
	v_add_f16_e32 v83, v77, v70
	v_add_f16_e32 v87, v81, v68
	v_fma_f16 v22, v39, s5, v22
	v_fma_f16 v36, v61, s5, v36
	v_mul_f16_e32 v39, 0x3aee, v21
	v_pack_b32_f16 v83, v83, v87
	v_fma_f16 v39, v36, 0.5, v39
	v_mul_f16_e32 v36, 0xbaee, v36
	v_fma_f16 v40, v40, s4, v67
	ds_write2_b32 v30, v76, v83 offset0:48 offset1:168
	v_fma_f16 v30, v53, s4, v58
	v_fma_f16 v21, v21, 0.5, v36
	v_fma_f16 v36, v60, s5, v38
	v_fma_f16 v38, v64, s4, v54
	;; [unrolled: 1-line block ×3, first 2 shown]
	v_mul_f16_e32 v54, 0x3aee, v40
	v_fma_f16 v54, v53, 0.5, v54
	v_mul_f16_e32 v53, 0xbaee, v53
	v_fma_f16 v40, v40, 0.5, v53
	v_sub_f16_e32 v53, v22, v39
	v_sub_f16_e32 v56, v30, v21
	v_pack_b32_f16 v53, v53, v56
	v_sub_f16_e32 v56, v36, v54
	v_sub_f16_e32 v58, v38, v40
	v_pack_b32_f16 v56, v56, v58
	ds_write2_b32 v35, v53, v56 offset0:96 offset1:216
	v_lshrrev_b32_e32 v35, 16, v41
	v_mul_f16_sdwa v53, v35, v71 dst_sel:DWORD dst_unused:UNUSED_PAD src0_sel:DWORD src1_sel:WORD_1
	v_fma_f16 v53, v41, v71, -v53
	v_mul_f16_sdwa v41, v41, v71 dst_sel:DWORD dst_unused:UNUSED_PAD src0_sel:DWORD src1_sel:WORD_1
	v_fma_f16 v35, v35, v71, v41
	v_add_f16_e32 v41, v20, v35
	v_add_f16_e32 v38, v38, v40
	;; [unrolled: 1-line block ×3, first 2 shown]
	v_fma_f16 v41, v41, -0.5, v11
	v_sub_f16_e32 v58, v18, v53
	v_add_f16_e32 v36, v36, v54
	v_fma_f16 v40, v40, -0.5, v10
	v_sub_f16_e32 v54, v20, v35
	v_fma_f16 v60, v58, s4, v41
	v_fma_f16 v56, v54, s5, v40
	v_mul_f16_e32 v61, 0x3aee, v60
	v_fma_f16 v61, v56, 0.5, v61
	v_mul_f16_e32 v56, 0xbaee, v56
	v_fma_f16 v56, v60, 0.5, v56
	v_pack_b32_f16 v36, v36, v38
	v_add_f16_e32 v38, v72, v74
	v_lshrrev_b32_e32 v60, 16, v42
	v_add_f16_e32 v64, v37, v73
	v_fma_f16 v38, v38, -0.5, v42
	v_fma_f16 v64, v64, -0.5, v60
	v_sub_f16_e32 v65, v37, v73
	v_sub_f16_e32 v67, v72, v74
	v_fma_f16 v66, v65, s5, v38
	v_fma_f16 v71, v67, s4, v64
	v_add_f16_e32 v76, v66, v61
	v_add_f16_e32 v83, v71, v56
	v_pack_b32_f16 v76, v76, v83
	v_add_f16_e32 v42, v42, v72
	v_add_f16_e32 v37, v60, v37
	;; [unrolled: 1-line block ×4, first 2 shown]
	ds_write2_b32 v25, v36, v76 offset0:80 offset1:200
	v_sub_f16_e32 v25, v82, v85
	v_sub_f16_e32 v36, v84, v86
	v_add_f16_e32 v42, v42, v74
	v_add_f16_e32 v37, v37, v73
	;; [unrolled: 1-line block ×4, first 2 shown]
	v_pack_b32_f16 v18, v25, v36
	v_sub_f16_e32 v20, v42, v10
	v_sub_f16_e32 v25, v37, v11
	v_fma_f16 v35, v54, s4, v40
	v_pack_b32_f16 v20, v20, v25
	v_fma_f16 v25, v65, s4, v38
	v_fma_f16 v36, v58, s5, v41
	v_mul_f16_e32 v38, -0.5, v35
	v_fma_f16 v38, v36, s5, v38
	v_mul_f16_e32 v36, -0.5, v36
	ds_write2_b32 v29, v18, v20 offset0:128 offset1:248
	v_sub_f16_e32 v18, v77, v70
	v_sub_f16_e32 v20, v81, v68
	v_fma_f16 v29, v67, s5, v64
	v_fma_f16 v35, v35, s4, v36
	v_pack_b32_f16 v18, v18, v20
	v_sub_f16_e32 v20, v25, v38
	v_sub_f16_e32 v36, v29, v35
	v_pack_b32_f16 v20, v20, v36
	ds_write2_b32 v34, v18, v20 offset0:48 offset1:168
	v_lshrrev_b32_e32 v18, 16, v44
	v_mul_f16_sdwa v20, v44, v9 dst_sel:DWORD dst_unused:UNUSED_PAD src0_sel:DWORD src1_sel:WORD_1
	v_fma_f16 v20, v18, v9, v20
	v_mul_f16_sdwa v18, v18, v9 dst_sel:DWORD dst_unused:UNUSED_PAD src0_sel:DWORD src1_sel:WORD_1
	v_fma_f16 v9, v44, v9, -v18
	v_add_f16_e32 v10, v42, v10
	v_add_f16_e32 v11, v37, v11
	v_lshrrev_b32_e32 v18, 16, v43
	v_pack_b32_f16 v10, v10, v11
	v_add_f16_e32 v11, v43, v1
	v_add_f16_e32 v34, v18, v2
	;; [unrolled: 1-line block ×10, first 2 shown]
	v_pack_b32_f16 v40, v40, v41
	ds_write2_b32 v33, v10, v40 offset0:112 offset1:232
	v_add_f16_e32 v10, v1, v3
	v_sub_f16_e32 v1, v1, v3
	v_add_f16_e32 v3, v7, v9
	v_sub_f16_e32 v33, v2, v5
	v_add_f16_e32 v2, v2, v5
	v_fma_f16 v3, v3, -0.5, v6
	v_sub_f16_e32 v5, v8, v20
	v_add_f16_e32 v6, v8, v20
	v_fma_f16 v4, v6, -0.5, v4
	v_sub_f16_e32 v6, v7, v9
	v_fma_f16 v7, v5, s4, v3
	v_fma_f16 v2, v2, -0.5, v18
	v_fma_f16 v8, v6, s5, v4
	v_mul_f16_e32 v9, -0.5, v7
	v_fma_f16 v10, v10, -0.5, v43
	v_fma_f16 v9, v8, s5, v9
	v_mul_f16_e32 v8, -0.5, v8
	v_fma_f16 v20, v1, s5, v2
	v_fma_f16 v1, v1, s4, v2
	;; [unrolled: 1-line block ×4, first 2 shown]
	v_add_f16_e32 v25, v25, v38
	v_add_f16_e32 v29, v29, v35
	v_fma_f16 v7, v7, s4, v8
	v_fma_f16 v18, v33, s4, v10
	v_mul_f16_e32 v4, 0x3aee, v3
	v_pack_b32_f16 v8, v25, v29
	v_add_f16_e32 v25, v18, v9
	v_add_f16_e32 v29, v20, v7
	v_fma_f16 v4, v2, 0.5, v4
	v_mul_f16_e32 v2, 0xbaee, v2
	v_pack_b32_f16 v25, v25, v29
	v_fma_f16 v10, v33, s5, v10
	v_fma_f16 v2, v3, 0.5, v2
	ds_write2_b32 v24, v8, v25 offset0:32 offset1:152
	v_sub_f16_e32 v8, v66, v61
	v_sub_f16_e32 v24, v71, v56
	;; [unrolled: 1-line block ×4, first 2 shown]
	v_pack_b32_f16 v3, v8, v24
	v_pack_b32_f16 v5, v5, v6
	ds_write2_b32 v27, v3, v5 offset0:80 offset1:200
	v_lshrrev_b32_e32 v3, 16, v45
	v_add_f16_e32 v1, v1, v2
	v_sub_f16_e32 v2, v11, v36
	v_add_f16_e32 v11, v59, v48
	v_mul_f16_sdwa v5, v3, v49 dst_sel:DWORD dst_unused:UNUSED_PAD src0_sel:DWORD src1_sel:WORD_1
	v_sub_f16_e32 v9, v18, v9
	v_sub_f16_e32 v7, v20, v7
	v_fma_f16 v11, v11, -0.5, v0
	v_lshrrev_b32_e32 v18, 16, v0
	v_sub_f16_e32 v20, v46, v50
	v_add_f16_e32 v29, v46, v50
	v_fma_f16 v5, v45, v49, -v5
	v_mul_f16_sdwa v6, v45, v49 dst_sel:DWORD dst_unused:UNUSED_PAD src0_sel:DWORD src1_sel:WORD_1
	v_fma_f16 v27, v20, s5, v11
	v_fma_f16 v11, v20, s4, v11
	v_add_f16_e32 v20, v18, v46
	v_fma_f16 v18, v29, -0.5, v18
	v_sub_f16_e32 v29, v59, v48
	v_fma_f16 v3, v3, v49, v6
	v_add_f16_e32 v8, v30, v21
	v_fma_f16 v30, v29, s4, v18
	v_fma_f16 v18, v29, s5, v18
	v_add_f16_e32 v29, v55, v5
	v_fma_f16 v29, v29, -0.5, v51
	v_sub_f16_e32 v33, v47, v3
	v_add_f16_e32 v4, v10, v4
	v_sub_f16_e32 v10, v34, v37
	v_fma_f16 v34, v33, s5, v29
	v_fma_f16 v29, v33, s4, v29
	v_add_f16_e32 v33, v52, v47
	v_add_f16_e32 v33, v33, v3
	;; [unrolled: 1-line block ×4, first 2 shown]
	v_fma_f16 v3, v3, -0.5, v52
	v_add_f16_e32 v35, v35, v5
	v_sub_f16_e32 v5, v55, v5
	v_fma_f16 v36, v5, s4, v3
	v_fma_f16 v3, v5, s5, v3
	v_mul_f16_e32 v5, 0x3aee, v36
	v_fma_f16 v5, v34, 0.5, v5
	v_mul_f16_e32 v34, 0xbaee, v34
	v_add_f16_e32 v0, v0, v59
	v_fma_f16 v34, v36, 0.5, v34
	v_mul_f16_e32 v36, -0.5, v29
	v_add_f16_e32 v20, v20, v50
	v_add_f16_e32 v0, v0, v48
	v_fma_f16 v36, v3, s5, v36
	v_mul_f16_e32 v3, -0.5, v3
	v_add_f16_e32 v6, v22, v39
	v_fma_f16 v3, v29, s4, v3
	v_add_f16_e32 v29, v0, v35
	v_sub_f16_e32 v0, v0, v35
	v_add_f16_e32 v35, v27, v5
	v_sub_f16_e32 v5, v27, v5
	;; [unrolled: 2-line block ×4, first 2 shown]
	v_sub_f16_e32 v22, v69, v62
	v_sub_f16_e32 v25, v75, v57
	v_add_f16_e32 v33, v30, v34
	v_sub_f16_e32 v30, v30, v34
	v_pack_b32_f16 v6, v6, v8
	v_pack_b32_f16 v1, v4, v1
	;; [unrolled: 1-line block ×6, first 2 shown]
	v_sub_f16_e32 v21, v63, v79
	v_sub_f16_e32 v24, v78, v80
	v_add_f16_e32 v34, v18, v3
	v_sub_f16_e32 v3, v18, v3
	v_pack_b32_f16 v18, v22, v25
	ds_write2_b32 v28, v7, v6 offset0:96 offset1:216
	v_pack_b32_f16 v6, v35, v33
	ds_write2_b32 v15, v2, v0 offset0:112 offset1:232
	v_pack_b32_f16 v0, v5, v30
	v_pack_b32_f16 v8, v21, v24
	ds_write2_b32 v32, v1, v6 offset0:64 offset1:184
	v_pack_b32_f16 v1, v27, v34
	ds_write2_b32 v23, v0, v18 offset0:64 offset1:184
	;; [unrolled: 2-line block ×3, first 2 shown]
	ds_write2_b32 v26, v4, v0 offset0:32 offset1:152
	s_waitcnt lgkmcnt(0)
	s_barrier
	s_and_saveexec_b64 s[4:5], s[0:1]
	s_cbranch_execz .LBB0_21
; %bb.20:
	v_mul_lo_u32 v2, s3, v16
	v_mul_lo_u32 v3, s2, v17
	v_mad_u64_u32 v[0:1], s[0:1], s2, v16, 0
	v_mov_b32_e32 v5, s11
	v_lshl_add_u32 v4, v14, 2, 0
	v_add3_u32 v1, v1, v3, v2
	v_lshlrev_b64 v[0:1], 2, v[0:1]
	v_mov_b32_e32 v15, v19
	v_add_co_u32_e32 v6, vcc, s10, v0
	v_addc_co_u32_e32 v5, vcc, v5, v1, vcc
	v_lshlrev_b64 v[0:1], 2, v[12:13]
	ds_read2_b32 v[2:3], v4 offset1:120
	v_add_co_u32_e32 v6, vcc, v6, v0
	v_addc_co_u32_e32 v5, vcc, v5, v1, vcc
	v_lshlrev_b64 v[0:1], 2, v[14:15]
	v_add_u32_e32 v18, 0x78, v14
	v_add_co_u32_e32 v0, vcc, v6, v0
	v_addc_co_u32_e32 v1, vcc, v5, v1, vcc
	s_waitcnt lgkmcnt(0)
	global_store_dword v[0:1], v2, off
	v_lshlrev_b64 v[0:1], 2, v[18:19]
	v_add_u32_e32 v18, 0xf0, v14
	v_add_co_u32_e32 v0, vcc, v6, v0
	v_addc_co_u32_e32 v1, vcc, v5, v1, vcc
	global_store_dword v[0:1], v3, off
	v_add_u32_e32 v0, 0x200, v4
	ds_read2_b32 v[0:1], v0 offset0:112 offset1:232
	v_lshlrev_b64 v[2:3], 2, v[18:19]
	v_add_u32_e32 v18, 0x168, v14
	v_add_co_u32_e32 v2, vcc, v6, v2
	v_addc_co_u32_e32 v3, vcc, v5, v3, vcc
	s_waitcnt lgkmcnt(0)
	global_store_dword v[2:3], v0, off
	v_lshlrev_b64 v[2:3], 2, v[18:19]
	v_add_u32_e32 v0, 0x600, v4
	v_add_co_u32_e32 v2, vcc, v6, v2
	v_addc_co_u32_e32 v3, vcc, v5, v3, vcc
	global_store_dword v[2:3], v1, off
	v_add_u32_e32 v18, 0x1e0, v14
	ds_read2_b32 v[0:1], v0 offset0:96 offset1:216
	;; [unrolled: 13-line block ×14, first 2 shown]
	v_lshlrev_b64 v[2:3], 2, v[18:19]
	v_add_u32_e32 v18, 0xd98, v14
	v_add_co_u32_e32 v2, vcc, v6, v2
	v_addc_co_u32_e32 v3, vcc, v5, v3, vcc
	s_waitcnt lgkmcnt(0)
	global_store_dword v[2:3], v0, off
	v_lshlrev_b64 v[2:3], 2, v[18:19]
	v_add_co_u32_e32 v2, vcc, v6, v2
	v_addc_co_u32_e32 v3, vcc, v5, v3, vcc
	global_store_dword v[2:3], v1, off
.LBB0_21:
	s_endpgm
	.section	.rodata,"a",@progbits
	.p2align	6, 0x0
	.amdhsa_kernel fft_rtc_fwd_len3600_factors_10_10_6_6_wgs_120_tpt_120_halfLds_half_op_CI_CI_unitstride_sbrr_C2R_dirReg
		.amdhsa_group_segment_fixed_size 0
		.amdhsa_private_segment_fixed_size 0
		.amdhsa_kernarg_size 104
		.amdhsa_user_sgpr_count 6
		.amdhsa_user_sgpr_private_segment_buffer 1
		.amdhsa_user_sgpr_dispatch_ptr 0
		.amdhsa_user_sgpr_queue_ptr 0
		.amdhsa_user_sgpr_kernarg_segment_ptr 1
		.amdhsa_user_sgpr_dispatch_id 0
		.amdhsa_user_sgpr_flat_scratch_init 0
		.amdhsa_user_sgpr_private_segment_size 0
		.amdhsa_uses_dynamic_stack 0
		.amdhsa_system_sgpr_private_segment_wavefront_offset 0
		.amdhsa_system_sgpr_workgroup_id_x 1
		.amdhsa_system_sgpr_workgroup_id_y 0
		.amdhsa_system_sgpr_workgroup_id_z 0
		.amdhsa_system_sgpr_workgroup_info 0
		.amdhsa_system_vgpr_workitem_id 0
		.amdhsa_next_free_vgpr 112
		.amdhsa_next_free_sgpr 28
		.amdhsa_reserve_vcc 1
		.amdhsa_reserve_flat_scratch 0
		.amdhsa_float_round_mode_32 0
		.amdhsa_float_round_mode_16_64 0
		.amdhsa_float_denorm_mode_32 3
		.amdhsa_float_denorm_mode_16_64 3
		.amdhsa_dx10_clamp 1
		.amdhsa_ieee_mode 1
		.amdhsa_fp16_overflow 0
		.amdhsa_exception_fp_ieee_invalid_op 0
		.amdhsa_exception_fp_denorm_src 0
		.amdhsa_exception_fp_ieee_div_zero 0
		.amdhsa_exception_fp_ieee_overflow 0
		.amdhsa_exception_fp_ieee_underflow 0
		.amdhsa_exception_fp_ieee_inexact 0
		.amdhsa_exception_int_div_zero 0
	.end_amdhsa_kernel
	.text
.Lfunc_end0:
	.size	fft_rtc_fwd_len3600_factors_10_10_6_6_wgs_120_tpt_120_halfLds_half_op_CI_CI_unitstride_sbrr_C2R_dirReg, .Lfunc_end0-fft_rtc_fwd_len3600_factors_10_10_6_6_wgs_120_tpt_120_halfLds_half_op_CI_CI_unitstride_sbrr_C2R_dirReg
                                        ; -- End function
	.section	.AMDGPU.csdata,"",@progbits
; Kernel info:
; codeLenInByte = 20112
; NumSgprs: 32
; NumVgprs: 112
; ScratchSize: 0
; MemoryBound: 0
; FloatMode: 240
; IeeeMode: 1
; LDSByteSize: 0 bytes/workgroup (compile time only)
; SGPRBlocks: 3
; VGPRBlocks: 27
; NumSGPRsForWavesPerEU: 32
; NumVGPRsForWavesPerEU: 112
; Occupancy: 2
; WaveLimiterHint : 1
; COMPUTE_PGM_RSRC2:SCRATCH_EN: 0
; COMPUTE_PGM_RSRC2:USER_SGPR: 6
; COMPUTE_PGM_RSRC2:TRAP_HANDLER: 0
; COMPUTE_PGM_RSRC2:TGID_X_EN: 1
; COMPUTE_PGM_RSRC2:TGID_Y_EN: 0
; COMPUTE_PGM_RSRC2:TGID_Z_EN: 0
; COMPUTE_PGM_RSRC2:TIDIG_COMP_CNT: 0
	.type	__hip_cuid_509f778d1905d7ed,@object ; @__hip_cuid_509f778d1905d7ed
	.section	.bss,"aw",@nobits
	.globl	__hip_cuid_509f778d1905d7ed
__hip_cuid_509f778d1905d7ed:
	.byte	0                               ; 0x0
	.size	__hip_cuid_509f778d1905d7ed, 1

	.ident	"AMD clang version 19.0.0git (https://github.com/RadeonOpenCompute/llvm-project roc-6.4.0 25133 c7fe45cf4b819c5991fe208aaa96edf142730f1d)"
	.section	".note.GNU-stack","",@progbits
	.addrsig
	.addrsig_sym __hip_cuid_509f778d1905d7ed
	.amdgpu_metadata
---
amdhsa.kernels:
  - .args:
      - .actual_access:  read_only
        .address_space:  global
        .offset:         0
        .size:           8
        .value_kind:     global_buffer
      - .offset:         8
        .size:           8
        .value_kind:     by_value
      - .actual_access:  read_only
        .address_space:  global
        .offset:         16
        .size:           8
        .value_kind:     global_buffer
      - .actual_access:  read_only
        .address_space:  global
        .offset:         24
        .size:           8
        .value_kind:     global_buffer
      - .actual_access:  read_only
        .address_space:  global
        .offset:         32
        .size:           8
        .value_kind:     global_buffer
      - .offset:         40
        .size:           8
        .value_kind:     by_value
      - .actual_access:  read_only
        .address_space:  global
        .offset:         48
        .size:           8
        .value_kind:     global_buffer
      - .actual_access:  read_only
        .address_space:  global
        .offset:         56
        .size:           8
        .value_kind:     global_buffer
      - .offset:         64
        .size:           4
        .value_kind:     by_value
      - .actual_access:  read_only
        .address_space:  global
        .offset:         72
        .size:           8
        .value_kind:     global_buffer
      - .actual_access:  read_only
        .address_space:  global
        .offset:         80
        .size:           8
        .value_kind:     global_buffer
      - .actual_access:  read_only
        .address_space:  global
        .offset:         88
        .size:           8
        .value_kind:     global_buffer
      - .actual_access:  write_only
        .address_space:  global
        .offset:         96
        .size:           8
        .value_kind:     global_buffer
    .group_segment_fixed_size: 0
    .kernarg_segment_align: 8
    .kernarg_segment_size: 104
    .language:       OpenCL C
    .language_version:
      - 2
      - 0
    .max_flat_workgroup_size: 120
    .name:           fft_rtc_fwd_len3600_factors_10_10_6_6_wgs_120_tpt_120_halfLds_half_op_CI_CI_unitstride_sbrr_C2R_dirReg
    .private_segment_fixed_size: 0
    .sgpr_count:     32
    .sgpr_spill_count: 0
    .symbol:         fft_rtc_fwd_len3600_factors_10_10_6_6_wgs_120_tpt_120_halfLds_half_op_CI_CI_unitstride_sbrr_C2R_dirReg.kd
    .uniform_work_group_size: 1
    .uses_dynamic_stack: false
    .vgpr_count:     112
    .vgpr_spill_count: 0
    .wavefront_size: 64
amdhsa.target:   amdgcn-amd-amdhsa--gfx906
amdhsa.version:
  - 1
  - 2
...

	.end_amdgpu_metadata
